;; amdgpu-corpus repo=ROCm/rocFFT kind=compiled arch=gfx1030 opt=O3
	.text
	.amdgcn_target "amdgcn-amd-amdhsa--gfx1030"
	.amdhsa_code_object_version 6
	.protected	fft_rtc_back_len2000_factors_5_5_5_16_wgs_125_tpt_125_halfLds_dp_ip_CI_sbrr_dirReg ; -- Begin function fft_rtc_back_len2000_factors_5_5_5_16_wgs_125_tpt_125_halfLds_dp_ip_CI_sbrr_dirReg
	.globl	fft_rtc_back_len2000_factors_5_5_5_16_wgs_125_tpt_125_halfLds_dp_ip_CI_sbrr_dirReg
	.p2align	8
	.type	fft_rtc_back_len2000_factors_5_5_5_16_wgs_125_tpt_125_halfLds_dp_ip_CI_sbrr_dirReg,@function
fft_rtc_back_len2000_factors_5_5_5_16_wgs_125_tpt_125_halfLds_dp_ip_CI_sbrr_dirReg: ; @fft_rtc_back_len2000_factors_5_5_5_16_wgs_125_tpt_125_halfLds_dp_ip_CI_sbrr_dirReg
; %bb.0:
	s_clause 0x2
	s_load_dwordx2 s[14:15], s[4:5], 0x18
	s_load_dwordx4 s[8:11], s[4:5], 0x0
	s_load_dwordx2 s[12:13], s[4:5], 0x50
	v_mul_u32_u24_e32 v1, 0x20d, v0
	v_mov_b32_e32 v3, 0
	v_add_nc_u32_sdwa v5, s6, v1 dst_sel:DWORD dst_unused:UNUSED_PAD src0_sel:DWORD src1_sel:WORD_1
	v_mov_b32_e32 v1, 0
	v_mov_b32_e32 v6, v3
	v_mov_b32_e32 v2, 0
	s_waitcnt lgkmcnt(0)
	s_load_dwordx2 s[2:3], s[14:15], 0x0
	v_cmp_lt_u64_e64 s0, s[10:11], 2
	s_and_b32 vcc_lo, exec_lo, s0
	s_cbranch_vccnz .LBB0_8
; %bb.1:
	s_load_dwordx2 s[0:1], s[4:5], 0x10
	v_mov_b32_e32 v1, 0
	s_add_u32 s6, s14, 8
	v_mov_b32_e32 v2, 0
	s_addc_u32 s7, s15, 0
	s_mov_b64 s[18:19], 1
	s_waitcnt lgkmcnt(0)
	s_add_u32 s16, s0, 8
	s_addc_u32 s17, s1, 0
.LBB0_2:                                ; =>This Inner Loop Header: Depth=1
	s_load_dwordx2 s[20:21], s[16:17], 0x0
                                        ; implicit-def: $vgpr7_vgpr8
	s_mov_b32 s0, exec_lo
	s_waitcnt lgkmcnt(0)
	v_or_b32_e32 v4, s21, v6
	v_cmpx_ne_u64_e32 0, v[3:4]
	s_xor_b32 s1, exec_lo, s0
	s_cbranch_execz .LBB0_4
; %bb.3:                                ;   in Loop: Header=BB0_2 Depth=1
	v_cvt_f32_u32_e32 v4, s20
	v_cvt_f32_u32_e32 v7, s21
	s_sub_u32 s0, 0, s20
	s_subb_u32 s22, 0, s21
	v_fmac_f32_e32 v4, 0x4f800000, v7
	v_rcp_f32_e32 v4, v4
	v_mul_f32_e32 v4, 0x5f7ffffc, v4
	v_mul_f32_e32 v7, 0x2f800000, v4
	v_trunc_f32_e32 v7, v7
	v_fmac_f32_e32 v4, 0xcf800000, v7
	v_cvt_u32_f32_e32 v7, v7
	v_cvt_u32_f32_e32 v4, v4
	v_mul_lo_u32 v8, s0, v7
	v_mul_hi_u32 v9, s0, v4
	v_mul_lo_u32 v10, s22, v4
	v_add_nc_u32_e32 v8, v9, v8
	v_mul_lo_u32 v9, s0, v4
	v_add_nc_u32_e32 v8, v8, v10
	v_mul_hi_u32 v10, v4, v9
	v_mul_lo_u32 v11, v4, v8
	v_mul_hi_u32 v12, v4, v8
	v_mul_hi_u32 v13, v7, v9
	v_mul_lo_u32 v9, v7, v9
	v_mul_hi_u32 v14, v7, v8
	v_mul_lo_u32 v8, v7, v8
	v_add_co_u32 v10, vcc_lo, v10, v11
	v_add_co_ci_u32_e32 v11, vcc_lo, 0, v12, vcc_lo
	v_add_co_u32 v9, vcc_lo, v10, v9
	v_add_co_ci_u32_e32 v9, vcc_lo, v11, v13, vcc_lo
	v_add_co_ci_u32_e32 v10, vcc_lo, 0, v14, vcc_lo
	v_add_co_u32 v8, vcc_lo, v9, v8
	v_add_co_ci_u32_e32 v9, vcc_lo, 0, v10, vcc_lo
	v_add_co_u32 v4, vcc_lo, v4, v8
	v_add_co_ci_u32_e32 v7, vcc_lo, v7, v9, vcc_lo
	v_mul_hi_u32 v8, s0, v4
	v_mul_lo_u32 v10, s22, v4
	v_mul_lo_u32 v9, s0, v7
	v_add_nc_u32_e32 v8, v8, v9
	v_mul_lo_u32 v9, s0, v4
	v_add_nc_u32_e32 v8, v8, v10
	v_mul_hi_u32 v10, v4, v9
	v_mul_lo_u32 v11, v4, v8
	v_mul_hi_u32 v12, v4, v8
	v_mul_hi_u32 v13, v7, v9
	v_mul_lo_u32 v9, v7, v9
	v_mul_hi_u32 v14, v7, v8
	v_mul_lo_u32 v8, v7, v8
	v_add_co_u32 v10, vcc_lo, v10, v11
	v_add_co_ci_u32_e32 v11, vcc_lo, 0, v12, vcc_lo
	v_add_co_u32 v9, vcc_lo, v10, v9
	v_add_co_ci_u32_e32 v9, vcc_lo, v11, v13, vcc_lo
	v_add_co_ci_u32_e32 v10, vcc_lo, 0, v14, vcc_lo
	v_add_co_u32 v8, vcc_lo, v9, v8
	v_add_co_ci_u32_e32 v9, vcc_lo, 0, v10, vcc_lo
	v_add_co_u32 v4, vcc_lo, v4, v8
	v_add_co_ci_u32_e32 v11, vcc_lo, v7, v9, vcc_lo
	v_mul_hi_u32 v13, v5, v4
	v_mad_u64_u32 v[9:10], null, v6, v4, 0
	v_mad_u64_u32 v[7:8], null, v5, v11, 0
	;; [unrolled: 1-line block ×3, first 2 shown]
	v_add_co_u32 v4, vcc_lo, v13, v7
	v_add_co_ci_u32_e32 v7, vcc_lo, 0, v8, vcc_lo
	v_add_co_u32 v4, vcc_lo, v4, v9
	v_add_co_ci_u32_e32 v4, vcc_lo, v7, v10, vcc_lo
	v_add_co_ci_u32_e32 v7, vcc_lo, 0, v12, vcc_lo
	v_add_co_u32 v4, vcc_lo, v4, v11
	v_add_co_ci_u32_e32 v9, vcc_lo, 0, v7, vcc_lo
	v_mul_lo_u32 v10, s21, v4
	v_mad_u64_u32 v[7:8], null, s20, v4, 0
	v_mul_lo_u32 v11, s20, v9
	v_sub_co_u32 v7, vcc_lo, v5, v7
	v_add3_u32 v8, v8, v11, v10
	v_sub_nc_u32_e32 v10, v6, v8
	v_subrev_co_ci_u32_e64 v10, s0, s21, v10, vcc_lo
	v_add_co_u32 v11, s0, v4, 2
	v_add_co_ci_u32_e64 v12, s0, 0, v9, s0
	v_sub_co_u32 v13, s0, v7, s20
	v_sub_co_ci_u32_e32 v8, vcc_lo, v6, v8, vcc_lo
	v_subrev_co_ci_u32_e64 v10, s0, 0, v10, s0
	v_cmp_le_u32_e32 vcc_lo, s20, v13
	v_cmp_eq_u32_e64 s0, s21, v8
	v_cndmask_b32_e64 v13, 0, -1, vcc_lo
	v_cmp_le_u32_e32 vcc_lo, s21, v10
	v_cndmask_b32_e64 v14, 0, -1, vcc_lo
	v_cmp_le_u32_e32 vcc_lo, s20, v7
	;; [unrolled: 2-line block ×3, first 2 shown]
	v_cndmask_b32_e64 v15, 0, -1, vcc_lo
	v_cmp_eq_u32_e32 vcc_lo, s21, v10
	v_cndmask_b32_e64 v7, v15, v7, s0
	v_cndmask_b32_e32 v10, v14, v13, vcc_lo
	v_add_co_u32 v13, vcc_lo, v4, 1
	v_add_co_ci_u32_e32 v14, vcc_lo, 0, v9, vcc_lo
	v_cmp_ne_u32_e32 vcc_lo, 0, v10
	v_cndmask_b32_e32 v8, v14, v12, vcc_lo
	v_cndmask_b32_e32 v10, v13, v11, vcc_lo
	v_cmp_ne_u32_e32 vcc_lo, 0, v7
	v_cndmask_b32_e32 v8, v9, v8, vcc_lo
	v_cndmask_b32_e32 v7, v4, v10, vcc_lo
.LBB0_4:                                ;   in Loop: Header=BB0_2 Depth=1
	s_andn2_saveexec_b32 s0, s1
	s_cbranch_execz .LBB0_6
; %bb.5:                                ;   in Loop: Header=BB0_2 Depth=1
	v_cvt_f32_u32_e32 v4, s20
	s_sub_i32 s1, 0, s20
	v_rcp_iflag_f32_e32 v4, v4
	v_mul_f32_e32 v4, 0x4f7ffffe, v4
	v_cvt_u32_f32_e32 v4, v4
	v_mul_lo_u32 v7, s1, v4
	v_mul_hi_u32 v7, v4, v7
	v_add_nc_u32_e32 v4, v4, v7
	v_mul_hi_u32 v4, v5, v4
	v_mul_lo_u32 v7, v4, s20
	v_add_nc_u32_e32 v8, 1, v4
	v_sub_nc_u32_e32 v7, v5, v7
	v_subrev_nc_u32_e32 v9, s20, v7
	v_cmp_le_u32_e32 vcc_lo, s20, v7
	v_cndmask_b32_e32 v7, v7, v9, vcc_lo
	v_cndmask_b32_e32 v4, v4, v8, vcc_lo
	v_cmp_le_u32_e32 vcc_lo, s20, v7
	v_add_nc_u32_e32 v8, 1, v4
	v_cndmask_b32_e32 v7, v4, v8, vcc_lo
	v_mov_b32_e32 v8, v3
.LBB0_6:                                ;   in Loop: Header=BB0_2 Depth=1
	s_or_b32 exec_lo, exec_lo, s0
	s_load_dwordx2 s[0:1], s[6:7], 0x0
	v_mul_lo_u32 v4, v8, s20
	v_mul_lo_u32 v11, v7, s21
	v_mad_u64_u32 v[9:10], null, v7, s20, 0
	s_add_u32 s18, s18, 1
	s_addc_u32 s19, s19, 0
	s_add_u32 s6, s6, 8
	s_addc_u32 s7, s7, 0
	;; [unrolled: 2-line block ×3, first 2 shown]
	v_add3_u32 v4, v10, v11, v4
	v_sub_co_u32 v5, vcc_lo, v5, v9
	v_sub_co_ci_u32_e32 v4, vcc_lo, v6, v4, vcc_lo
	s_waitcnt lgkmcnt(0)
	v_mul_lo_u32 v6, s1, v5
	v_mul_lo_u32 v4, s0, v4
	v_mad_u64_u32 v[1:2], null, s0, v5, v[1:2]
	v_cmp_ge_u64_e64 s0, s[18:19], s[10:11]
	s_and_b32 vcc_lo, exec_lo, s0
	v_add3_u32 v2, v6, v2, v4
	s_cbranch_vccnz .LBB0_9
; %bb.7:                                ;   in Loop: Header=BB0_2 Depth=1
	v_mov_b32_e32 v5, v7
	v_mov_b32_e32 v6, v8
	s_branch .LBB0_2
.LBB0_8:
	v_mov_b32_e32 v8, v6
	v_mov_b32_e32 v7, v5
.LBB0_9:
	s_lshl_b64 s[0:1], s[10:11], 3
	v_mul_hi_u32 v3, 0x20c49bb, v0
	s_add_u32 s0, s14, s0
	s_addc_u32 s1, s15, s1
	s_load_dwordx2 s[0:1], s[0:1], 0x0
	s_load_dwordx2 s[4:5], s[4:5], 0x20
	v_mul_u32_u24_e32 v3, 0x7d, v3
	v_sub_nc_u32_e32 v125, v0, v3
	v_add_nc_u32_e32 v127, 0x7d, v125
	v_add_nc_u32_e32 v126, 0xfa, v125
	s_waitcnt lgkmcnt(0)
	v_mul_lo_u32 v4, s0, v8
	v_mul_lo_u32 v5, s1, v7
	v_mad_u64_u32 v[1:2], null, s0, v7, v[1:2]
	v_cmp_gt_u64_e32 vcc_lo, s[4:5], v[7:8]
	v_cmp_le_u64_e64 s0, s[4:5], v[7:8]
                                        ; implicit-def: $sgpr4
	v_add3_u32 v2, v5, v2, v4
	s_and_saveexec_b32 s1, s0
	s_xor_b32 s0, exec_lo, s1
; %bb.10:
	v_add_nc_u32_e32 v127, 0x7d, v125
	v_add_nc_u32_e32 v126, 0xfa, v125
	s_mov_b32 s4, 0
; %bb.11:
	s_or_saveexec_b32 s1, s0
	v_lshlrev_b64 v[102:103], 4, v[1:2]
	v_mov_b32_e32 v124, s4
                                        ; implicit-def: $vgpr22_vgpr23
                                        ; implicit-def: $vgpr14_vgpr15
                                        ; implicit-def: $vgpr10_vgpr11
                                        ; implicit-def: $vgpr2_vgpr3
                                        ; implicit-def: $vgpr18_vgpr19
                                        ; implicit-def: $vgpr26_vgpr27
                                        ; implicit-def: $vgpr42_vgpr43
                                        ; implicit-def: $vgpr60_vgpr61
                                        ; implicit-def: $vgpr64_vgpr65
                                        ; implicit-def: $vgpr50_vgpr51
                                        ; implicit-def: $vgpr46_vgpr47
                                        ; implicit-def: $vgpr34_vgpr35
                                        ; implicit-def: $vgpr72_vgpr73
                                        ; implicit-def: $vgpr76_vgpr77
                                        ; implicit-def: $vgpr84_vgpr85
                                        ; implicit-def: $vgpr80_vgpr81
                                        ; implicit-def: $vgpr88_vgpr89
                                        ; implicit-def: $vgpr30_vgpr31
                                        ; implicit-def: $vgpr38_vgpr39
                                        ; implicit-def: $vgpr6_vgpr7
	s_xor_b32 exec_lo, exec_lo, s1
	s_cbranch_execz .LBB0_15
; %bb.12:
	v_add_nc_u32_e32 v6, 0x190, v125
	v_mad_u64_u32 v[0:1], null, s2, v125, 0
	v_add_nc_u32_e32 v7, 0x320, v125
	v_add_nc_u32_e32 v14, 0x4b0, v125
	v_mad_u64_u32 v[2:3], null, s2, v6, 0
	v_add_co_u32 v52, s0, s12, v102
	v_mad_u64_u32 v[8:9], null, s2, v7, 0
	v_mad_u64_u32 v[10:11], null, s2, v14, 0
	;; [unrolled: 1-line block ×3, first 2 shown]
	v_mov_b32_e32 v1, v3
	v_add_co_ci_u32_e64 v53, s0, s13, v103, s0
	v_add_nc_u32_e32 v16, 0x640, v125
	v_add_nc_u32_e32 v32, 0x52d, v125
	v_mad_u64_u32 v[5:6], null, s3, v6, v[1:2]
	v_mov_b32_e32 v1, v4
	v_mov_b32_e32 v4, v9
	v_mad_u64_u32 v[12:13], null, s2, v16, 0
	v_add_nc_u32_e32 v35, 0x6bd, v125
	v_lshlrev_b64 v[0:1], 4, v[0:1]
	v_mov_b32_e32 v3, v5
	v_mov_b32_e32 v5, v11
	v_add_nc_u32_e32 v42, 0x28a, v125
	v_mad_u64_u32 v[30:31], null, s2, v35, 0
	v_lshlrev_b64 v[2:3], 4, v[2:3]
	v_add_co_u32 v0, s0, v52, v0
	v_mad_u64_u32 v[6:7], null, s3, v7, v[4:5]
	v_add_co_ci_u32_e64 v1, s0, v53, v1, s0
	v_add_co_u32 v2, s0, v52, v2
	v_add_co_ci_u32_e64 v3, s0, v53, v3, s0
	v_mov_b32_e32 v9, v6
	v_mad_u64_u32 v[14:15], null, s3, v14, v[5:6]
	s_clause 0x1
	global_load_dwordx4 v[4:7], v[0:1], off
	global_load_dwordx4 v[20:23], v[2:3], off
	v_mov_b32_e32 v2, v13
	v_lshlrev_b64 v[0:1], 4, v[8:9]
	v_mad_u64_u32 v[8:9], null, s2, v127, 0
	v_mad_u64_u32 v[40:41], null, s2, v42, 0
	v_mov_b32_e32 v11, v14
	v_mad_u64_u32 v[2:3], null, s3, v16, v[2:3]
	v_add_co_u32 v0, s0, v52, v0
	v_mov_b32_e32 v3, v9
	v_lshlrev_b64 v[9:10], 4, v[10:11]
	v_add_nc_u32_e32 v11, 0x20d, v125
	v_add_nc_u32_e32 v14, 0x39d, v125
	v_add_co_ci_u32_e64 v1, s0, v53, v1, s0
	v_mov_b32_e32 v13, v2
	v_mad_u64_u32 v[24:25], null, s2, v11, 0
	v_add_co_u32 v16, s0, v52, v9
	v_add_co_ci_u32_e64 v17, s0, v53, v10, s0
	v_mad_u64_u32 v[26:27], null, s2, v14, 0
	v_mov_b32_e32 v10, v25
	v_add_nc_u32_e32 v48, 0x41a, v125
	v_add_nc_u32_e32 v50, 0x5aa, v125
	;; [unrolled: 1-line block ×3, first 2 shown]
	s_mov_b32 s4, exec_lo
	v_mad_u64_u32 v[10:11], null, s3, v11, v[10:11]
	v_mov_b32_e32 v11, v27
	v_mad_u64_u32 v[44:45], null, s2, v50, 0
	v_mad_u64_u32 v[46:47], null, s2, v51, 0
	;; [unrolled: 1-line block ×3, first 2 shown]
	v_mov_b32_e32 v25, v10
	v_mad_u64_u32 v[28:29], null, s2, v32, 0
                                        ; implicit-def: $vgpr86_vgpr87
                                        ; implicit-def: $vgpr78_vgpr79
                                        ; implicit-def: $vgpr82_vgpr83
                                        ; implicit-def: $vgpr74_vgpr75
                                        ; implicit-def: $vgpr70_vgpr71
	v_lshlrev_b64 v[24:25], 4, v[24:25]
	v_lshlrev_b64 v[26:27], 4, v[26:27]
	v_mad_u64_u32 v[32:33], null, s3, v32, v[29:30]
	v_mad_u64_u32 v[33:34], null, s2, v126, 0
	v_mov_b32_e32 v29, v32
	v_mad_u64_u32 v[31:32], null, s3, v35, v[31:32]
	v_mov_b32_e32 v32, v34
	v_lshlrev_b64 v[28:29], 4, v[28:29]
	v_mad_u64_u32 v[34:35], null, s3, v126, v[32:33]
	v_mov_b32_e32 v32, v41
	v_mov_b32_e32 v35, v45
	v_lshlrev_b64 v[30:31], 4, v[30:31]
	v_mad_u64_u32 v[41:42], null, s3, v42, v[32:33]
	v_mad_u64_u32 v[42:43], null, s2, v48, 0
	v_lshlrev_b64 v[32:33], 4, v[33:34]
	v_lshlrev_b64 v[40:41], 4, v[40:41]
	v_mov_b32_e32 v34, v43
	v_mad_u64_u32 v[48:49], null, s3, v48, v[34:35]
	v_mov_b32_e32 v43, v48
	s_waitcnt vmcnt(1)
	v_mad_u64_u32 v[2:3], null, s3, v127, v[3:4]
	v_mov_b32_e32 v9, v2
	v_lshlrev_b64 v[2:3], 4, v[12:13]
	v_lshlrev_b64 v[8:9], 4, v[8:9]
	v_add_co_u32 v2, s0, v52, v2
	v_add_co_ci_u32_e64 v3, s0, v53, v3, s0
	v_add_co_u32 v18, s0, v52, v8
	v_add_co_ci_u32_e64 v19, s0, v53, v9, s0
	;; [unrolled: 2-line block ×4, first 2 shown]
	s_clause 0x5
	global_load_dwordx4 v[12:15], v[0:1], off
	global_load_dwordx4 v[8:11], v[16:17], off
	;; [unrolled: 1-line block ×6, first 2 shown]
	v_add_co_u32 v28, s0, v52, v28
	v_add_co_ci_u32_e64 v29, s0, v53, v29, s0
	v_add_co_u32 v30, s0, v52, v30
	v_add_co_ci_u32_e64 v31, s0, v53, v31, s0
	;; [unrolled: 2-line block ×4, first 2 shown]
	s_waitcnt vmcnt(1)
	v_mad_u64_u32 v[34:35], null, s3, v50, v[35:36]
	v_mov_b32_e32 v35, v47
	v_mov_b32_e32 v45, v34
	v_mad_u64_u32 v[34:35], null, s3, v51, v[35:36]
	v_lshlrev_b64 v[50:51], 4, v[42:43]
	s_clause 0x1
	global_load_dwordx4 v[40:43], v[28:29], off
	global_load_dwordx4 v[28:31], v[30:31], off
	v_lshlrev_b64 v[44:45], 4, v[44:45]
	v_mov_b32_e32 v47, v34
	v_add_co_u32 v34, s0, v52, v50
	v_add_co_ci_u32_e64 v35, s0, v53, v51, s0
	v_lshlrev_b64 v[46:47], 4, v[46:47]
	v_add_co_u32 v44, s0, v52, v44
	v_add_co_ci_u32_e64 v45, s0, v53, v45, s0
	v_add_co_u32 v54, s0, v52, v46
	v_add_co_ci_u32_e64 v55, s0, v53, v47, s0
	s_clause 0x4
	global_load_dwordx4 v[58:61], v[32:33], off
	global_load_dwordx4 v[62:65], v[48:49], off
	;; [unrolled: 1-line block ×5, first 2 shown]
	v_cmpx_gt_u32_e32 25, v125
	s_cbranch_execz .LBB0_14
; %bb.13:
	v_add_nc_u32_e32 v70, 0x177, v125
	v_add_nc_u32_e32 v73, 0x307, v125
	;; [unrolled: 1-line block ×5, first 2 shown]
	v_mad_u64_u32 v[54:55], null, s2, v70, 0
	v_mad_u64_u32 v[56:57], null, s2, v73, 0
	;; [unrolled: 1-line block ×6, first 2 shown]
	v_mov_b32_e32 v55, v67
	s_waitcnt vmcnt(4)
	v_mad_u64_u32 v[73:74], null, s3, v73, v[57:58]
	v_mov_b32_e32 v67, v69
	v_mad_u64_u32 v[74:75], null, s3, v75, v[55:56]
	v_mov_b32_e32 v69, v72
	v_mov_b32_e32 v55, v70
	;; [unrolled: 1-line block ×3, first 2 shown]
	v_mad_u64_u32 v[72:73], null, s3, v76, v[67:68]
	v_mov_b32_e32 v67, v74
	v_mad_u64_u32 v[73:74], null, s3, v77, v[69:70]
	v_lshlrev_b64 v[54:55], 4, v[54:55]
	v_lshlrev_b64 v[56:57], 4, v[56:57]
	v_mov_b32_e32 v69, v72
	v_lshlrev_b64 v[66:67], 4, v[66:67]
	v_add_co_u32 v54, s0, v52, v54
	v_mov_b32_e32 v72, v73
	v_add_co_ci_u32_e64 v55, s0, v53, v55, s0
	v_add_co_u32 v56, s0, v52, v56
	v_lshlrev_b64 v[68:69], 4, v[68:69]
	v_add_co_ci_u32_e64 v57, s0, v53, v57, s0
	v_add_co_u32 v66, s0, v52, v66
	v_lshlrev_b64 v[70:71], 4, v[71:72]
	v_add_co_ci_u32_e64 v67, s0, v53, v67, s0
	v_add_co_u32 v68, s0, v52, v68
	v_add_co_ci_u32_e64 v69, s0, v53, v69, s0
	v_add_co_u32 v52, s0, v52, v70
	v_add_co_ci_u32_e64 v53, s0, v53, v71, s0
	s_clause 0x4
	global_load_dwordx4 v[86:89], v[54:55], off
	global_load_dwordx4 v[78:81], v[56:57], off
	;; [unrolled: 1-line block ×5, first 2 shown]
.LBB0_14:
	s_or_b32 exec_lo, exec_lo, s4
	v_mov_b32_e32 v124, v125
.LBB0_15:
	s_or_b32 exec_lo, exec_lo, s1
	v_add_f64 v[52:53], v[12:13], v[8:9]
	v_add_f64 v[54:55], v[20:21], v[0:1]
	;; [unrolled: 1-line block ×3, first 2 shown]
	v_add_f64 v[92:93], v[14:15], -v[10:11]
	s_waitcnt vmcnt(6)
	v_add_f64 v[98:99], v[24:25], v[40:41]
	s_waitcnt vmcnt(5)
	v_add_f64 v[100:101], v[28:29], v[36:37]
	;; [unrolled: 2-line block ×3, first 2 shown]
	v_add_f64 v[118:119], v[74:75], v[82:83]
	s_waitcnt vmcnt(0)
	v_add_f64 v[130:131], v[70:71], v[78:79]
	v_add_f64 v[108:109], v[62:63], v[32:33]
	s_mov_b32 s4, 0x134454ff
	s_mov_b32 s5, 0xbfee6f0e
	;; [unrolled: 1-line block ×4, first 2 shown]
	v_add_f64 v[66:67], v[20:21], -v[12:13]
	v_add_f64 v[68:69], v[0:1], -v[8:9]
	;; [unrolled: 1-line block ×5, first 2 shown]
	v_add_f64 v[110:111], v[16:17], v[36:37]
	v_add_f64 v[112:113], v[38:39], -v[30:31]
	v_add_f64 v[114:115], v[26:27], -v[42:43]
	v_fma_f64 v[52:53], v[52:53], -0.5, v[4:5]
	v_fma_f64 v[4:5], v[54:55], -0.5, v[4:5]
	v_add_f64 v[132:133], v[58:59], v[62:63]
	v_add_f64 v[134:135], v[64:65], -v[34:35]
	v_fma_f64 v[98:99], v[98:99], -0.5, v[16:17]
	v_fma_f64 v[16:17], v[100:101], -0.5, v[16:17]
	;; [unrolled: 1-line block ×3, first 2 shown]
	v_add_f64 v[142:143], v[80:81], -v[72:73]
	v_add_f64 v[144:145], v[84:85], -v[76:77]
	v_add_f64 v[146:147], v[78:79], v[86:87]
	v_fma_f64 v[118:119], v[118:119], -0.5, v[86:87]
	v_fma_f64 v[86:87], v[130:131], -0.5, v[86:87]
	v_add_f64 v[136:137], v[50:51], -v[46:47]
	v_fma_f64 v[58:59], v[108:109], -0.5, v[58:59]
	s_mov_b32 s0, 0x4755a5e
	s_mov_b32 s1, 0xbfe2cf23
	;; [unrolled: 1-line block ×4, first 2 shown]
	v_add_f64 v[104:105], v[36:37], -v[24:25]
	v_add_f64 v[54:55], v[28:29], -v[40:41]
	;; [unrolled: 1-line block ×5, first 2 shown]
	v_fma_f64 v[138:139], v[92:93], s[6:7], v[4:5]
	v_fma_f64 v[4:5], v[92:93], s[4:5], v[4:5]
	v_add_f64 v[128:129], v[32:33], -v[44:45]
	v_add_f64 v[56:57], v[12:13], v[56:57]
	v_fma_f64 v[108:109], v[90:91], s[4:5], v[52:53]
	v_add_f64 v[66:67], v[66:67], v[68:69]
	v_add_f64 v[68:69], v[94:95], v[96:97]
	;; [unrolled: 1-line block ×4, first 2 shown]
	v_fma_f64 v[52:53], v[90:91], s[6:7], v[52:53]
	v_fma_f64 v[110:111], v[112:113], s[4:5], v[98:99]
	;; [unrolled: 1-line block ×6, first 2 shown]
	v_add_f64 v[150:151], v[70:71], -v[74:75]
	v_fma_f64 v[152:153], v[142:143], s[4:5], v[118:119]
	v_fma_f64 v[118:119], v[142:143], s[6:7], v[118:119]
	v_add_f64 v[154:155], v[82:83], -v[78:79]
	v_add_f64 v[156:157], v[74:75], -v[70:71]
	v_fma_f64 v[158:159], v[144:145], s[6:7], v[86:87]
	v_fma_f64 v[86:87], v[144:145], s[4:5], v[86:87]
	;; [unrolled: 1-line block ×5, first 2 shown]
	v_add_f64 v[106:107], v[78:79], -v[82:83]
	v_add_f64 v[146:147], v[82:83], v[146:147]
	v_add_f64 v[100:101], v[48:49], -v[62:63]
	v_add_f64 v[140:141], v[44:45], -v[32:33]
	v_fma_f64 v[148:149], v[136:137], s[6:7], v[58:59]
	v_fma_f64 v[58:59], v[136:137], s[4:5], v[58:59]
	v_add_f64 v[56:57], v[8:9], v[56:57]
	v_fma_f64 v[108:109], v[92:93], s[0:1], v[108:109]
	v_fma_f64 v[52:53], v[92:93], s[10:11], v[52:53]
	v_add_f64 v[54:55], v[54:55], v[104:105]
	v_add_f64 v[92:93], v[40:41], v[94:95]
	v_fma_f64 v[94:95], v[114:115], s[0:1], v[110:111]
	v_add_f64 v[104:105], v[120:121], v[116:117]
	v_fma_f64 v[110:111], v[112:113], s[0:1], v[130:131]
	v_fma_f64 v[16:17], v[112:113], s[10:11], v[16:17]
	;; [unrolled: 1-line block ×3, first 2 shown]
	v_add_f64 v[112:113], v[122:123], v[128:129]
	v_fma_f64 v[118:119], v[144:145], s[10:11], v[118:119]
	v_add_f64 v[122:123], v[156:157], v[154:155]
	v_fma_f64 v[128:129], v[142:143], s[0:1], v[158:159]
	v_fma_f64 v[86:87], v[142:143], s[10:11], v[86:87]
	v_add_f64 v[96:97], v[96:97], v[44:45]
	v_add_f64 v[120:121], v[150:151], v[106:107]
	v_fma_f64 v[106:107], v[144:145], s[0:1], v[152:153]
	v_add_f64 v[130:131], v[74:75], v[146:147]
	v_fma_f64 v[114:115], v[136:137], s[0:1], v[132:133]
	;; [unrolled: 2-line block ×3, first 2 shown]
	v_fma_f64 v[58:59], v[134:135], s[10:11], v[58:59]
	v_fma_f64 v[90:91], v[136:137], s[10:11], v[90:91]
	s_mov_b32 s0, 0x372fe950
	s_mov_b32 s1, 0x3fd3c6ef
	v_add_f64 v[56:57], v[0:1], v[56:57]
	v_fma_f64 v[132:133], v[66:67], s[0:1], v[108:109]
	v_fma_f64 v[52:53], v[66:67], s[0:1], v[52:53]
	v_add_f64 v[66:67], v[28:29], v[92:93]
	v_fma_f64 v[92:93], v[54:55], s[0:1], v[94:95]
	v_fma_f64 v[94:95], v[104:105], s[0:1], v[110:111]
	;; [unrolled: 1-line block ×10, first 2 shown]
	v_add_f64 v[86:87], v[70:71], v[130:131]
	v_add_f64 v[96:97], v[96:97], v[32:33]
	v_fma_f64 v[98:99], v[112:113], s[0:1], v[114:115]
	v_fma_f64 v[114:115], v[100:101], s[0:1], v[116:117]
	;; [unrolled: 1-line block ×4, first 2 shown]
	v_mad_u32_u24 v16, v125, 40, 0
	v_mad_i32_i24 v4, v127, 40, 0
	v_mad_i32_i24 v5, v126, 40, 0
	v_cmp_gt_u32_e64 s0, 25, v125
	ds_write2_b64 v16, v[56:57], v[132:133] offset1:1
	ds_write2_b64 v16, v[134:135], v[68:69] offset0:2 offset1:3
	ds_write_b64 v16, v[52:53] offset:32
	ds_write2_b64 v4, v[66:67], v[92:93] offset1:1
	ds_write2_b64 v4, v[94:95], v[136:137] offset0:2 offset1:3
	ds_write_b64 v4, v[54:55] offset:32
	;; [unrolled: 3-line block ×3, first 2 shown]
	s_and_saveexec_b32 s1, s0
	s_cbranch_execz .LBB0_17
; %bb.16:
	v_add_nc_u32_e32 v17, 0x3a98, v16
	v_add_nc_u32_e32 v52, 0x3aa8, v16
	ds_write2_b64 v17, v[86:87], v[106:107] offset1:1
	ds_write2_b64 v52, v[108:109], v[110:111] offset1:1
	ds_write_b64 v16, v[104:105] offset:15032
.LBB0_17:
	s_or_b32 exec_lo, exec_lo, s1
	v_lshlrev_b32_e32 v17, 5, v125
	v_lshlrev_b32_e32 v118, 5, v126
	s_waitcnt lgkmcnt(0)
	s_barrier
	buffer_gl0_inv
	v_sub_nc_u32_e32 v128, v16, v17
	v_lshlrev_b32_e32 v17, 5, v127
	v_sub_nc_u32_e32 v113, v5, v118
	v_add_nc_u32_e32 v52, 0xc00, v128
	v_add_nc_u32_e32 v56, 0x1c00, v128
	;; [unrolled: 1-line block ×6, first 2 shown]
	v_sub_nc_u32_e32 v112, v4, v17
	ds_read2_b64 v[98:101], v52 offset0:16 offset1:141
	ds_read2_b64 v[90:93], v53 offset0:10 offset1:160
	ds_read2_b64 v[94:97], v54 offset0:48 offset1:173
	ds_read2_b64 v[52:55], v55 offset0:42 offset1:192
	ds_read2_b64 v[66:69], v56 offset0:29 offset1:154
	ds_read2_b64 v[56:59], v57 offset0:61 offset1:186
	ds_read_b64 v[116:117], v128
	ds_read_b64 v[114:115], v112
	ds_read_b64 v[112:113], v113
	s_and_saveexec_b32 s1, s0
	s_cbranch_execz .LBB0_19
; %bb.18:
	ds_read_b64 v[86:87], v128 offset:3000
	ds_read_b64 v[106:107], v128 offset:6200
	ds_read_b64 v[108:109], v128 offset:9400
	ds_read_b64 v[110:111], v128 offset:12600
	ds_read_b64 v[104:105], v128 offset:15800
.LBB0_19:
	s_or_b32 exec_lo, exec_lo, s1
	v_add_f64 v[119:120], v[14:15], v[10:11]
	v_add_f64 v[121:122], v[22:23], v[2:3]
	;; [unrolled: 1-line block ×3, first 2 shown]
	v_add_f64 v[0:1], v[20:21], -v[0:1]
	v_add_f64 v[8:9], v[12:13], -v[8:9]
	;; [unrolled: 1-line block ×4, first 2 shown]
	v_add_f64 v[131:132], v[26:27], v[42:43]
	v_add_f64 v[22:23], v[14:15], -v[22:23]
	v_add_f64 v[133:134], v[30:31], v[38:39]
	v_add_f64 v[135:136], v[10:11], -v[2:3]
	v_add_f64 v[137:138], v[50:51], v[46:47]
	v_add_f64 v[141:142], v[64:65], v[34:35]
	;; [unrolled: 1-line block ×3, first 2 shown]
	s_mov_b32 s10, 0x134454ff
	s_mov_b32 s11, 0x3fee6f0e
	;; [unrolled: 1-line block ×4, first 2 shown]
	v_add_f64 v[139:140], v[18:19], v[38:39]
	v_add_f64 v[28:29], v[36:37], -v[28:29]
	v_add_f64 v[24:25], v[24:25], -v[40:41]
	v_add_f64 v[145:146], v[60:61], v[64:65]
	v_fma_f64 v[119:120], v[119:120], -0.5, v[6:7]
	v_fma_f64 v[6:7], v[121:122], -0.5, v[6:7]
	v_add_f64 v[121:122], v[76:77], v[84:85]
	v_add_f64 v[32:33], v[62:63], -v[32:33]
	v_add_f64 v[44:45], v[48:49], -v[44:45]
	v_add_f64 v[14:15], v[14:15], v[129:130]
	v_add_f64 v[70:71], v[78:79], -v[70:71]
	v_fma_f64 v[62:63], v[131:132], -0.5, v[18:19]
	v_add_f64 v[74:75], v[82:83], -v[74:75]
	v_fma_f64 v[18:19], v[133:134], -0.5, v[18:19]
	v_add_f64 v[12:13], v[12:13], v[20:21]
	v_fma_f64 v[131:132], v[137:138], -0.5, v[60:61]
	v_fma_f64 v[60:61], v[141:142], -0.5, v[60:61]
	v_add_f64 v[141:142], v[80:81], v[88:89]
	v_add_f64 v[20:21], v[22:23], v[135:136]
	v_fma_f64 v[22:23], v[147:148], -0.5, v[88:89]
	s_mov_b32 s4, 0x4755a5e
	s_mov_b32 s5, 0x3fe2cf23
	;; [unrolled: 1-line block ×4, first 2 shown]
	v_add_f64 v[36:37], v[38:39], -v[26:27]
	v_add_f64 v[40:41], v[30:31], -v[42:43]
	v_fma_f64 v[133:134], v[0:1], s[10:11], v[119:120]
	v_fma_f64 v[119:120], v[0:1], s[14:15], v[119:120]
	;; [unrolled: 1-line block ×3, first 2 shown]
	v_fma_f64 v[78:79], v[121:122], -0.5, v[88:89]
	v_add_f64 v[38:39], v[26:27], -v[38:39]
	v_add_f64 v[143:144], v[42:43], -v[30:31]
	;; [unrolled: 1-line block ×5, first 2 shown]
	v_add_f64 v[26:27], v[26:27], v[139:140]
	v_add_f64 v[50:51], v[145:146], v[50:51]
	;; [unrolled: 1-line block ×3, first 2 shown]
	v_fma_f64 v[6:7], v[8:9], s[10:11], v[6:7]
	v_fma_f64 v[14:15], v[28:29], s[10:11], v[62:63]
	;; [unrolled: 1-line block ×8, first 2 shown]
	v_add_f64 v[135:136], v[46:47], -v[34:35]
	v_fma_f64 v[60:61], v[44:45], s[10:11], v[60:61]
	v_fma_f64 v[133:134], v[8:9], s[4:5], v[133:134]
	;; [unrolled: 1-line block ×4, first 2 shown]
	v_add_f64 v[137:138], v[84:85], v[141:142]
	v_fma_f64 v[139:140], v[70:71], s[10:11], v[78:79]
	v_add_f64 v[141:142], v[80:81], -v[84:85]
	v_add_f64 v[145:146], v[72:73], -v[76:77]
	v_fma_f64 v[78:79], v[70:71], s[14:15], v[78:79]
	v_fma_f64 v[147:148], v[74:75], s[14:15], v[22:23]
	v_add_f64 v[80:81], v[84:85], -v[80:81]
	v_add_f64 v[84:85], v[76:77], -v[72:73]
	v_fma_f64 v[22:23], v[74:75], s[10:11], v[22:23]
	v_fma_f64 v[0:1], v[0:1], s[6:7], v[6:7]
	v_add_f64 v[6:7], v[42:43], v[26:27]
	v_fma_f64 v[14:15], v[24:25], s[4:5], v[14:15]
	v_add_f64 v[26:27], v[40:41], v[36:37]
	v_fma_f64 v[24:25], v[24:25], s[6:7], v[62:63]
	v_fma_f64 v[36:37], v[28:29], s[4:5], v[82:83]
	v_add_f64 v[38:39], v[143:144], v[38:39]
	v_fma_f64 v[18:19], v[28:29], s[6:7], v[18:19]
	v_add_f64 v[28:29], v[50:51], v[46:47]
	v_fma_f64 v[40:41], v[44:45], s[4:5], v[88:89]
	v_add_f64 v[42:43], v[48:49], v[129:130]
	v_fma_f64 v[44:45], v[44:45], s[6:7], v[121:122]
	v_fma_f64 v[46:47], v[32:33], s[4:5], v[131:132]
	v_add_f64 v[48:49], v[64:65], v[135:136]
	;; [unrolled: 7-line block ×3, first 2 shown]
	v_fma_f64 v[22:23], v[70:71], s[6:7], v[22:23]
	s_mov_b32 s4, 0x372fe950
	s_mov_b32 s5, 0x3fd3c6ef
	v_add_f64 v[2:3], v[2:3], v[10:11]
	v_fma_f64 v[10:11], v[12:13], s[4:5], v[133:134]
	v_fma_f64 v[8:9], v[12:13], s[4:5], v[8:9]
	v_fma_f64 v[12:13], v[20:21], s[4:5], v[119:120]
	v_fma_f64 v[0:1], v[20:21], s[4:5], v[0:1]
	v_add_f64 v[20:21], v[30:31], v[6:7]
	v_fma_f64 v[14:15], v[26:27], s[4:5], v[14:15]
	v_fma_f64 v[26:27], v[26:27], s[4:5], v[24:25]
	v_fma_f64 v[30:31], v[38:39], s[4:5], v[36:37]
	v_fma_f64 v[18:19], v[38:39], s[4:5], v[18:19]
	;; [unrolled: 5-line block ×4, first 2 shown]
	v_sub_nc_u32_e32 v7, 0, v17
	v_sub_nc_u32_e32 v6, 0, v118
	v_add_nc_u32_e32 v131, 0x177, v125
	s_waitcnt lgkmcnt(0)
	s_barrier
	buffer_gl0_inv
	ds_write2_b64 v16, v[2:3], v[10:11] offset1:1
	ds_write2_b64 v16, v[12:13], v[0:1] offset0:2 offset1:3
	ds_write_b64 v16, v[8:9] offset:32
	ds_write2_b64 v4, v[20:21], v[14:15] offset1:1
	ds_write2_b64 v4, v[30:31], v[18:19] offset0:2 offset1:3
	ds_write_b64 v4, v[26:27] offset:32
	ds_write2_b64 v5, v[28:29], v[40:41] offset1:1
	ds_write2_b64 v5, v[44:45], v[46:47] offset0:2 offset1:3
	ds_write_b64 v5, v[42:43] offset:32
	s_and_saveexec_b32 s1, s0
	s_cbranch_execz .LBB0_21
; %bb.20:
	v_mad_u32_u24 v0, v131, 40, 0
	ds_write2_b64 v0, v[24:25], v[34:35] offset1:1
	ds_write2_b64 v0, v[36:37], v[38:39] offset0:2 offset1:3
	ds_write_b64 v0, v[32:33] offset:32
.LBB0_21:
	s_or_b32 exec_lo, exec_lo, s1
	v_add_nc_u32_e32 v0, 0xc00, v128
	s_waitcnt lgkmcnt(0)
	s_barrier
	v_add_nc_u32_e32 v1, 0x1400, v128
	buffer_gl0_inv
	ds_read2_b64 v[20:23], v0 offset0:16 offset1:141
	v_add_nc_u32_e32 v0, 0x2c00, v128
	v_add_nc_u32_e32 v8, 0x1c00, v128
	v_add_nc_u32_e32 v2, 0x2400, v128
	v_add_nc_u32_e32 v26, 0x3400, v128
	v_add_nc_u32_e32 v129, v4, v7
	v_add_nc_u32_e32 v130, v5, v6
	ds_read2_b64 v[12:15], v1 offset0:10 offset1:160
	ds_read2_b64 v[16:19], v2 offset0:48 offset1:173
	;; [unrolled: 1-line block ×5, first 2 shown]
	ds_read_b64 v[30:31], v128
	ds_read_b64 v[28:29], v129
	;; [unrolled: 1-line block ×3, first 2 shown]
	s_and_saveexec_b32 s1, s0
	s_cbranch_execz .LBB0_23
; %bb.22:
	ds_read_b64 v[24:25], v128 offset:3000
	ds_read_b64 v[34:35], v128 offset:6200
	;; [unrolled: 1-line block ×5, first 2 shown]
.LBB0_23:
	s_or_b32 exec_lo, exec_lo, s1
	v_and_b32_e32 v133, 0xff, v127
	v_and_b32_e32 v132, 0xff, v125
	v_mov_b32_e32 v44, 0xcccd
	v_mov_b32_e32 v49, 6
	s_mov_b32 s4, 0x134454ff
	v_mul_lo_u16 v41, 0xcd, v133
	v_mul_lo_u16 v40, 0xcd, v132
	v_mul_u32_u24_sdwa v65, v131, v44 dst_sel:DWORD dst_unused:UNUSED_PAD src0_sel:WORD_0 src1_sel:DWORD
	s_mov_b32 s5, 0xbfee6f0e
	s_mov_b32 s17, 0x3fee6f0e
	v_lshrrev_b16 v61, 10, v41
	v_mul_u32_u24_sdwa v41, v126, v44 dst_sel:DWORD dst_unused:UNUSED_PAD src0_sel:WORD_0 src1_sel:DWORD
	v_lshrrev_b16 v48, 10, v40
	v_lshrrev_b32_e32 v65, 18, v65
	s_mov_b32 s16, s4
	v_mul_lo_u16 v42, v61, 5
	v_lshrrev_b32_e32 v63, 18, v41
	v_mul_lo_u16 v40, v48, 5
	v_mul_lo_u16 v75, v65, 5
	s_mov_b32 s10, 0x4755a5e
	v_sub_nc_u16 v62, v127, v42
	v_mul_lo_u16 v45, v63, 5
	v_sub_nc_u16 v60, v125, v40
	v_sub_nc_u16 v134, v131, v75
	s_mov_b32 s11, 0xbfe2cf23
	v_lshlrev_b32_sdwa v51, v49, v62 dst_sel:DWORD dst_unused:UNUSED_PAD src0_sel:DWORD src1_sel:BYTE_0
	v_sub_nc_u16 v64, v126, v45
	v_lshlrev_b32_sdwa v50, v49, v60 dst_sel:DWORD dst_unused:UNUSED_PAD src0_sel:DWORD src1_sel:BYTE_0
	s_mov_b32 s15, 0x3fe2cf23
	s_mov_b32 s14, s10
	global_load_dwordx4 v[44:47], v51, s[8:9]
	v_lshlrev_b32_sdwa v74, v49, v64 dst_sel:DWORD dst_unused:UNUSED_PAD src0_sel:DWORD src1_sel:WORD_0
	s_clause 0x4
	global_load_dwordx4 v[40:43], v50, s[8:9]
	global_load_dwordx4 v[70:73], v50, s[8:9] offset:32
	global_load_dwordx4 v[76:79], v51, s[8:9] offset:32
	;; [unrolled: 1-line block ×3, first 2 shown]
	global_load_dwordx4 v[118:121], v74, s[8:9]
	v_lshlrev_b32_sdwa v49, v49, v134 dst_sel:DWORD dst_unused:UNUSED_PAD src0_sel:DWORD src1_sel:WORD_0
	s_clause 0x9
	global_load_dwordx4 v[135:138], v50, s[8:9] offset:48
	global_load_dwordx4 v[139:142], v51, s[8:9] offset:16
	;; [unrolled: 1-line block ×6, first 2 shown]
	global_load_dwordx4 v[159:162], v49, s[8:9]
	global_load_dwordx4 v[163:166], v49, s[8:9] offset:16
	global_load_dwordx4 v[167:170], v49, s[8:9] offset:32
	;; [unrolled: 1-line block ×3, first 2 shown]
	v_mov_b32_e32 v193, 0xc8
	s_mov_b32 s6, 0x372fe950
	s_mov_b32 s7, 0x3fd3c6ef
	s_waitcnt vmcnt(0) lgkmcnt(0)
	s_barrier
	buffer_gl0_inv
	v_mul_f64 v[74:75], v[22:23], v[46:47]
	v_mul_f64 v[46:47], v[100:101], v[46:47]
	;; [unrolled: 1-line block ×22, first 2 shown]
	v_fma_f64 v[78:79], v[100:101], v[44:45], v[74:75]
	v_fma_f64 v[74:75], v[22:23], v[44:45], -v[46:47]
	v_fma_f64 v[88:89], v[98:99], v[40:41], v[49:50]
	v_fma_f64 v[84:85], v[20:21], v[40:41], -v[42:43]
	v_mul_f64 v[20:21], v[10:11], v[149:150]
	v_mul_f64 v[98:99], v[68:69], v[149:150]
	;; [unrolled: 1-line block ×4, first 2 shown]
	v_fma_f64 v[46:47], v[16:17], v[70:71], -v[72:73]
	v_mul_f64 v[16:17], v[36:37], v[165:166]
	v_fma_f64 v[44:45], v[18:19], v[76:77], -v[175:176]
	v_mul_f64 v[18:19], v[32:33], v[173:174]
	v_mul_f64 v[153:154], v[52:53], v[153:154]
	;; [unrolled: 1-line block ×3, first 2 shown]
	v_fma_f64 v[94:95], v[94:95], v[70:71], v[80:81]
	v_mul_f64 v[165:166], v[108:109], v[165:166]
	v_fma_f64 v[80:81], v[96:97], v[76:77], v[122:123]
	v_mul_f64 v[173:174], v[104:105], v[173:174]
	v_fma_f64 v[92:93], v[92:93], v[82:83], v[177:178]
	v_fma_f64 v[72:73], v[14:15], v[82:83], -v[179:180]
	v_fma_f64 v[76:77], v[90:91], v[118:119], v[181:182]
	v_fma_f64 v[70:71], v[12:13], v[118:119], -v[120:121]
	v_fma_f64 v[90:91], v[54:55], v[135:136], v[183:184]
	v_fma_f64 v[66:67], v[66:67], v[139:140], v[185:186]
	;; [unrolled: 1-line block ×5, first 2 shown]
	v_fma_f64 v[100:101], v[10:11], v[147:148], -v[98:99]
	v_fma_f64 v[120:121], v[52:53], v[151:152], v[149:150]
	v_fma_f64 v[122:123], v[58:59], v[155:156], v[22:23]
	v_fma_f64 v[98:99], v[34:35], v[159:160], -v[161:162]
	v_fma_f64 v[108:109], v[108:109], v[163:164], v[16:17]
	v_fma_f64 v[110:111], v[110:111], v[167:168], v[191:192]
	v_fma_f64 v[34:35], v[38:39], v[167:168], -v[169:170]
	v_fma_f64 v[38:39], v[104:105], v[171:172], v[18:19]
	v_fma_f64 v[40:41], v[2:3], v[135:136], -v[137:138]
	v_fma_f64 v[50:51], v[8:9], v[139:140], -v[141:142]
	;; [unrolled: 1-line block ×7, first 2 shown]
	v_add_f64 v[2:3], v[92:93], v[94:95]
	v_add_f64 v[8:9], v[88:89], -v[92:93]
	v_add_f64 v[10:11], v[90:91], -v[94:95]
	v_add_f64 v[12:13], v[88:89], v[90:91]
	v_add_f64 v[14:15], v[92:93], -v[88:89]
	v_add_f64 v[16:17], v[94:95], -v[90:91]
	v_add_f64 v[20:21], v[66:67], v[80:81]
	v_add_f64 v[58:59], v[78:79], v[82:83]
	;; [unrolled: 1-line block ×5, first 2 shown]
	v_add_f64 v[6:7], v[72:73], -v[46:47]
	v_add_f64 v[145:146], v[108:109], v[110:111]
	v_add_f64 v[54:55], v[78:79], -v[66:67]
	v_add_f64 v[149:150], v[106:107], v[38:39]
	v_add_f64 v[4:5], v[84:85], -v[40:41]
	v_add_f64 v[52:53], v[50:51], -v[44:45]
	;; [unrolled: 1-line block ×6, first 2 shown]
	v_add_f64 v[139:140], v[112:113], v[76:77]
	v_add_f64 v[143:144], v[70:71], -v[68:69]
	v_add_f64 v[147:148], v[100:101], -v[96:97]
	;; [unrolled: 1-line block ×6, first 2 shown]
	v_add_f64 v[159:160], v[86:87], v[106:107]
	v_add_f64 v[161:162], v[98:99], -v[32:33]
	v_add_f64 v[163:164], v[36:37], -v[34:35]
	v_fma_f64 v[2:3], v[2:3], -0.5, v[116:117]
	v_fma_f64 v[12:13], v[12:13], -0.5, v[116:117]
	;; [unrolled: 1-line block ×6, first 2 shown]
	v_add_f64 v[8:9], v[8:9], v[10:11]
	v_fma_f64 v[10:11], v[145:146], -0.5, v[86:87]
	v_add_f64 v[14:15], v[14:15], v[16:17]
	v_fma_f64 v[16:17], v[149:150], -0.5, v[86:87]
	v_add_f64 v[18:19], v[114:115], v[78:79]
	v_add_f64 v[165:166], v[106:107], -v[108:109]
	v_add_f64 v[116:117], v[38:39], -v[110:111]
	;; [unrolled: 1-line block ×4, first 2 shown]
	v_add_f64 v[0:1], v[0:1], v[92:93]
	v_add_f64 v[54:55], v[54:55], v[56:57]
	;; [unrolled: 1-line block ×7, first 2 shown]
	v_fma_f64 v[141:142], v[4:5], s[4:5], v[2:3]
	v_fma_f64 v[2:3], v[4:5], s[16:17], v[2:3]
	;; [unrolled: 1-line block ×16, first 2 shown]
	v_add_f64 v[18:19], v[18:19], v[66:67]
	v_add_f64 v[116:117], v[165:166], v[116:117]
	;; [unrolled: 1-line block ×6, first 2 shown]
	v_fma_f64 v[141:142], v[6:7], s[10:11], v[141:142]
	v_fma_f64 v[1:2], v[6:7], s[14:15], v[2:3]
	;; [unrolled: 1-line block ×16, first 2 shown]
	v_add_f64 v[18:19], v[18:19], v[80:81]
	v_mul_u32_u24_sdwa v153, v48, v193 dst_sel:DWORD dst_unused:UNUSED_PAD src0_sel:WORD_0 src1_sel:DWORD
	v_mov_b32_e32 v0, 3
	v_add_f64 v[149:150], v[165:166], v[90:91]
	v_add_f64 v[151:152], v[86:87], v[122:123]
	;; [unrolled: 1-line block ×3, first 2 shown]
	v_fma_f64 v[139:140], v[8:9], s[6:7], v[141:142]
	v_fma_f64 v[1:2], v[8:9], s[6:7], v[1:2]
	v_fma_f64 v[5:6], v[14:15], s[6:7], v[6:7]
	v_fma_f64 v[3:4], v[14:15], s[6:7], v[3:4]
	v_fma_f64 v[7:8], v[54:55], s[6:7], v[12:13]
	v_fma_f64 v[12:13], v[54:55], s[6:7], v[20:21]
	v_fma_f64 v[14:15], v[56:57], s[6:7], v[52:53]
	v_fma_f64 v[20:21], v[56:57], s[6:7], v[22:23]
	v_fma_f64 v[22:23], v[104:105], s[6:7], v[58:59]
	v_fma_f64 v[137:138], v[104:105], s[6:7], v[137:138]
	v_fma_f64 v[141:142], v[135:136], s[6:7], v[145:146]
	v_fma_f64 v[135:136], v[135:136], s[6:7], v[112:113]
	v_fma_f64 v[54:55], v[116:117], s[6:7], v[143:144]
	v_fma_f64 v[52:53], v[116:117], s[6:7], v[10:11]
	v_fma_f64 v[58:59], v[114:115], s[6:7], v[147:148]
	v_fma_f64 v[56:57], v[114:115], s[6:7], v[16:17]
	v_add_f64 v[18:19], v[18:19], v[82:83]
	v_mul_u32_u24_sdwa v9, v61, v193 dst_sel:DWORD dst_unused:UNUSED_PAD src0_sel:WORD_0 src1_sel:DWORD
	v_mul_u32_u24_e32 v10, 0xc8, v63
	v_lshlrev_b32_sdwa v11, v0, v60 dst_sel:DWORD dst_unused:UNUSED_PAD src0_sel:DWORD src1_sel:BYTE_0
	v_lshlrev_b32_sdwa v16, v0, v62 dst_sel:DWORD dst_unused:UNUSED_PAD src0_sel:DWORD src1_sel:BYTE_0
	v_lshlrev_b32_sdwa v17, v0, v64 dst_sel:DWORD dst_unused:UNUSED_PAD src0_sel:DWORD src1_sel:WORD_0
	v_mul_lo_u16 v86, v65, 25
	v_add3_u32 v105, 0, v153, v11
	v_add3_u32 v112, 0, v9, v16
	;; [unrolled: 1-line block ×3, first 2 shown]
	ds_write2_b64 v105, v[149:150], v[139:140] offset1:5
	ds_write2_b64 v105, v[5:6], v[3:4] offset0:10 offset1:15
	ds_write_b64 v105, v[1:2] offset:160
	ds_write2_b64 v112, v[18:19], v[7:8] offset1:5
	ds_write2_b64 v112, v[14:15], v[20:21] offset0:10 offset1:15
	ds_write_b64 v112, v[12:13] offset:160
	;; [unrolled: 3-line block ×3, first 2 shown]
	s_and_saveexec_b32 s1, s0
	s_cbranch_execz .LBB0_25
; %bb.24:
	v_lshlrev_b32_sdwa v1, v0, v134 dst_sel:DWORD dst_unused:UNUSED_PAD src0_sel:DWORD src1_sel:WORD_0
	v_lshlrev_b32_sdwa v0, v0, v86 dst_sel:DWORD dst_unused:UNUSED_PAD src0_sel:DWORD src1_sel:WORD_0
	v_add3_u32 v0, 0, v1, v0
	ds_write2_b64 v0, v[48:49], v[54:55] offset1:5
	ds_write2_b64 v0, v[58:59], v[56:57] offset0:10 offset1:15
	ds_write_b64 v0, v[52:53] offset:160
.LBB0_25:
	s_or_b32 exec_lo, exec_lo, s1
	v_add_nc_u32_e32 v0, 0xc00, v128
	v_add_nc_u32_e32 v4, 0x1400, v128
	;; [unrolled: 1-line block ×6, first 2 shown]
	s_waitcnt lgkmcnt(0)
	s_barrier
	buffer_gl0_inv
	ds_read2_b64 v[0:3], v0 offset0:16 offset1:141
	ds_read2_b64 v[4:7], v4 offset0:10 offset1:160
	;; [unrolled: 1-line block ×6, first 2 shown]
	ds_read_b64 v[64:65], v128
	ds_read_b64 v[62:63], v129
	ds_read_b64 v[60:61], v130
	v_lshl_add_u32 v104, v125, 3, 0
	s_and_saveexec_b32 s1, s0
	s_cbranch_execz .LBB0_27
; %bb.26:
	ds_read_b64 v[48:49], v104 offset:3000
	ds_read_b64 v[54:55], v128 offset:6200
	;; [unrolled: 1-line block ×5, first 2 shown]
.LBB0_27:
	s_or_b32 exec_lo, exec_lo, s1
	v_add_f64 v[113:114], v[72:73], v[46:47]
	v_add_f64 v[115:116], v[84:85], v[40:41]
	;; [unrolled: 1-line block ×3, first 2 shown]
	v_add_f64 v[88:89], v[88:89], -v[90:91]
	v_add_f64 v[90:91], v[92:93], -v[94:95]
	v_add_f64 v[137:138], v[50:51], v[44:45]
	v_add_f64 v[139:140], v[74:75], v[42:43]
	v_add_f64 v[143:144], v[100:101], v[96:97]
	v_add_f64 v[147:148], v[70:71], v[68:69]
	v_add_f64 v[153:154], v[98:99], v[32:33]
	s_mov_b32 s10, 0x134454ff
	s_mov_b32 s11, 0x3fee6f0e
	;; [unrolled: 1-line block ×4, first 2 shown]
	v_add_f64 v[92:93], v[84:85], -v[72:73]
	v_add_f64 v[94:95], v[40:41], -v[46:47]
	;; [unrolled: 1-line block ×3, first 2 shown]
	v_add_f64 v[145:146], v[28:29], v[74:75]
	v_add_f64 v[78:79], v[78:79], -v[82:83]
	v_add_f64 v[66:67], v[66:67], -v[80:81]
	v_add_f64 v[151:152], v[26:27], v[70:71]
	v_add_f64 v[76:77], v[76:77], -v[122:123]
	v_fma_f64 v[113:114], v[113:114], -0.5, v[30:31]
	v_fma_f64 v[30:31], v[115:116], -0.5, v[30:31]
	v_add_f64 v[115:116], v[36:37], v[34:35]
	v_add_f64 v[117:118], v[118:119], -v[120:121]
	v_add_f64 v[72:73], v[135:136], v[72:73]
	v_fma_f64 v[121:122], v[137:138], -0.5, v[28:29]
	v_fma_f64 v[28:29], v[139:140], -0.5, v[28:29]
	;; [unrolled: 1-line block ×4, first 2 shown]
	v_add_f64 v[147:148], v[24:25], v[98:99]
	v_add_f64 v[38:39], v[106:107], -v[38:39]
	v_add_f64 v[106:107], v[108:109], -v[110:111]
	;; [unrolled: 1-line block ×3, first 2 shown]
	s_mov_b32 s4, 0x4755a5e
	s_mov_b32 s5, 0x3fe2cf23
	;; [unrolled: 1-line block ×4, first 2 shown]
	v_add_f64 v[80:81], v[74:75], -v[50:51]
	v_add_f64 v[82:83], v[42:43], -v[44:45]
	;; [unrolled: 1-line block ×5, first 2 shown]
	v_fma_f64 v[139:140], v[88:89], s[10:11], v[113:114]
	v_fma_f64 v[113:114], v[88:89], s[14:15], v[113:114]
	;; [unrolled: 1-line block ×3, first 2 shown]
	v_fma_f64 v[108:109], v[115:116], -0.5, v[24:25]
	v_fma_f64 v[24:25], v[153:154], -0.5, v[24:25]
	v_add_f64 v[70:71], v[100:101], -v[70:71]
	v_add_f64 v[92:93], v[92:93], v[94:95]
	v_add_f64 v[50:51], v[145:146], v[50:51]
	;; [unrolled: 1-line block ×4, first 2 shown]
	v_fma_f64 v[30:31], v[90:91], s[10:11], v[30:31]
	v_fma_f64 v[72:73], v[78:79], s[10:11], v[121:122]
	;; [unrolled: 1-line block ×9, first 2 shown]
	v_add_f64 v[151:152], v[32:33], -v[34:35]
	v_add_f64 v[135:136], v[68:69], -v[96:97]
	v_add_f64 v[84:85], v[84:85], v[141:142]
	v_fma_f64 v[139:140], v[90:91], s[4:5], v[139:140]
	v_fma_f64 v[90:91], v[90:91], s[6:7], v[113:114]
	;; [unrolled: 1-line block ×3, first 2 shown]
	v_add_f64 v[143:144], v[147:148], v[36:37]
	v_fma_f64 v[145:146], v[38:39], s[10:11], v[108:109]
	v_add_f64 v[147:148], v[98:99], -v[36:37]
	v_fma_f64 v[108:109], v[38:39], s[14:15], v[108:109]
	v_fma_f64 v[153:154], v[106:107], s[14:15], v[24:25]
	v_add_f64 v[36:37], v[36:37], -v[98:99]
	v_add_f64 v[98:99], v[34:35], -v[32:33]
	v_fma_f64 v[24:25], v[106:107], s[10:11], v[24:25]
	v_add_f64 v[141:142], v[96:97], -v[68:69]
	v_add_f64 v[44:45], v[50:51], v[44:45]
	v_fma_f64 v[50:51], v[66:67], s[4:5], v[72:73]
	v_add_f64 v[72:73], v[80:81], v[82:83]
	v_fma_f64 v[66:67], v[66:67], s[6:7], v[100:101]
	v_fma_f64 v[80:81], v[78:79], s[4:5], v[110:111]
	v_add_f64 v[74:75], v[74:75], v[149:150]
	v_fma_f64 v[28:29], v[78:79], s[6:7], v[28:29]
	v_add_f64 v[78:79], v[94:95], v[96:97]
	v_fma_f64 v[96:97], v[76:77], s[4:5], v[137:138]
	v_fma_f64 v[26:27], v[76:77], s[6:7], v[26:27]
	;; [unrolled: 1-line block ×4, first 2 shown]
	v_add_f64 v[88:89], v[119:120], v[135:136]
	v_add_f64 v[34:35], v[143:144], v[34:35]
	v_fma_f64 v[76:77], v[106:107], s[4:5], v[145:146]
	v_add_f64 v[100:101], v[147:148], v[151:152]
	v_fma_f64 v[106:107], v[106:107], s[6:7], v[108:109]
	v_fma_f64 v[108:109], v[38:39], s[4:5], v[153:154]
	;; [unrolled: 1-line block ×3, first 2 shown]
	v_add_f64 v[36:37], v[36:37], v[98:99]
	v_fma_f64 v[24:25], v[38:39], s[6:7], v[24:25]
	v_add_f64 v[70:71], v[70:71], v[141:142]
	s_mov_b32 s4, 0x372fe950
	s_mov_b32 s5, 0x3fd3c6ef
	v_add_f64 v[38:39], v[46:47], v[40:41]
	v_fma_f64 v[40:41], v[92:93], s[4:5], v[139:140]
	v_add_f64 v[42:43], v[44:45], v[42:43]
	v_fma_f64 v[44:45], v[72:73], s[4:5], v[50:51]
	v_fma_f64 v[66:67], v[72:73], s[4:5], v[66:67]
	v_fma_f64 v[80:81], v[74:75], s[4:5], v[80:81]
	v_fma_f64 v[28:29], v[74:75], s[4:5], v[28:29]
	v_add_f64 v[68:69], v[78:79], v[68:69]
	v_fma_f64 v[46:47], v[92:93], s[4:5], v[90:91]
	v_fma_f64 v[90:91], v[84:85], s[4:5], v[113:114]
	;; [unrolled: 1-line block ×3, first 2 shown]
	v_add_f64 v[50:51], v[34:35], v[32:33]
	v_fma_f64 v[82:83], v[88:89], s[4:5], v[82:83]
	v_fma_f64 v[74:75], v[100:101], s[4:5], v[76:77]
	;; [unrolled: 1-line block ×3, first 2 shown]
	s_waitcnt lgkmcnt(0)
	v_fma_f64 v[84:85], v[88:89], s[4:5], v[94:95]
	v_fma_f64 v[78:79], v[36:37], s[4:5], v[108:109]
	;; [unrolled: 1-line block ×5, first 2 shown]
	s_barrier
	buffer_gl0_inv
	ds_write2_b64 v105, v[38:39], v[40:41] offset1:5
	ds_write2_b64 v105, v[90:91], v[30:31] offset0:10 offset1:15
	ds_write_b64 v105, v[46:47] offset:160
	ds_write2_b64 v112, v[42:43], v[44:45] offset1:5
	ds_write2_b64 v112, v[80:81], v[28:29] offset0:10 offset1:15
	ds_write_b64 v112, v[66:67] offset:160
	;; [unrolled: 3-line block ×3, first 2 shown]
	s_and_saveexec_b32 s1, s0
	s_cbranch_execz .LBB0_29
; %bb.28:
	v_mov_b32_e32 v24, 3
	v_lshlrev_b32_sdwa v25, v24, v134 dst_sel:DWORD dst_unused:UNUSED_PAD src0_sel:DWORD src1_sel:WORD_0
	v_lshlrev_b32_sdwa v24, v24, v86 dst_sel:DWORD dst_unused:UNUSED_PAD src0_sel:DWORD src1_sel:WORD_0
	v_add3_u32 v24, 0, v25, v24
	ds_write2_b64 v24, v[50:51], v[74:75] offset1:5
	ds_write2_b64 v24, v[78:79], v[76:77] offset0:10 offset1:15
	ds_write_b64 v24, v[72:73] offset:160
.LBB0_29:
	s_or_b32 exec_lo, exec_lo, s1
	v_add_nc_u32_e32 v24, 0xc00, v128
	v_add_nc_u32_e32 v25, 0x1400, v128
	s_waitcnt lgkmcnt(0)
	s_barrier
	buffer_gl0_inv
	ds_read2_b64 v[32:35], v24 offset0:16 offset1:141
	v_add_nc_u32_e32 v24, 0x2400, v128
	v_add_nc_u32_e32 v26, 0x2c00, v128
	;; [unrolled: 1-line block ×4, first 2 shown]
	ds_read2_b64 v[28:31], v25 offset0:10 offset1:160
	ds_read2_b64 v[44:47], v24 offset0:48 offset1:173
	;; [unrolled: 1-line block ×5, first 2 shown]
	ds_read_b64 v[70:71], v128
	ds_read_b64 v[68:69], v129
	;; [unrolled: 1-line block ×3, first 2 shown]
	s_and_saveexec_b32 s1, s0
	s_cbranch_execz .LBB0_31
; %bb.30:
	ds_read_b64 v[50:51], v104 offset:3000
	ds_read_b64 v[74:75], v128 offset:6200
	;; [unrolled: 1-line block ×5, first 2 shown]
.LBB0_31:
	s_or_b32 exec_lo, exec_lo, s1
	v_mov_b32_e32 v80, 0x47af
	v_mul_lo_u16 v82, v132, 41
	v_mul_lo_u16 v83, v133, 41
	v_mov_b32_e32 v190, 0x3e8
	s_mov_b32 s10, 0x134454ff
	v_mul_u32_u24_sdwa v81, v126, v80 dst_sel:DWORD dst_unused:UNUSED_PAD src0_sel:WORD_0 src1_sel:DWORD
	v_lshrrev_b16 v86, 10, v82
	v_lshrrev_b16 v87, 10, v83
	v_mul_u32_u24_sdwa v80, v131, v80 dst_sel:DWORD dst_unused:UNUSED_PAD src0_sel:WORD_0 src1_sel:DWORD
	s_mov_b32 s11, 0xbfee6f0e
	v_lshrrev_b32_e32 v81, 16, v81
	v_mul_lo_u16 v83, v86, 25
	v_mul_lo_u16 v85, v87, 25
	v_lshrrev_b32_e32 v80, 16, v80
	v_mul_u32_u24_sdwa v192, v86, v190 dst_sel:DWORD dst_unused:UNUSED_PAD src0_sel:WORD_0 src1_sel:DWORD
	v_sub_nc_u16 v84, v126, v81
	v_sub_nc_u16 v123, v125, v83
	;; [unrolled: 1-line block ×3, first 2 shown]
	v_mul_u32_u24_sdwa v193, v87, v190 dst_sel:DWORD dst_unused:UNUSED_PAD src0_sel:WORD_0 src1_sel:DWORD
	s_mov_b32 s16, s10
	v_lshrrev_b16 v82, 1, v84
	v_mov_b32_e32 v84, 6
	s_mov_b32 s6, 0x4755a5e
	s_mov_b32 s7, 0xbfe2cf23
	s_mov_b32 s15, 0x3fe2cf23
	v_add_nc_u16 v81, v82, v81
	v_lshlrev_b32_sdwa v83, v84, v186 dst_sel:DWORD dst_unused:UNUSED_PAD src0_sel:DWORD src1_sel:BYTE_0
	v_sub_nc_u16 v82, v131, v80
	s_mov_b32 s14, s6
	v_mov_b32_e32 v191, 3
	v_lshrrev_b16 v187, 4, v81
	v_lshlrev_b32_sdwa v81, v84, v123 dst_sel:DWORD dst_unused:UNUSED_PAD src0_sel:DWORD src1_sel:BYTE_0
	v_lshrrev_b16 v82, 1, v82
	s_clause 0x3
	global_load_dwordx4 v[98:101], v81, s[8:9] offset:336
	global_load_dwordx4 v[105:108], v81, s[8:9] offset:320
	;; [unrolled: 1-line block ×4, first 2 shown]
	v_mul_lo_u16 v85, v187, 25
	s_clause 0x3
	global_load_dwordx4 v[117:120], v83, s[8:9] offset:336
	global_load_dwordx4 v[132:135], v83, s[8:9] offset:320
	;; [unrolled: 1-line block ×4, first 2 shown]
	v_add_nc_u16 v80, v82, v80
	v_lshlrev_b32_sdwa v123, v191, v123 dst_sel:DWORD dst_unused:UNUSED_PAD src0_sel:DWORD src1_sel:BYTE_0
	v_sub_nc_u16 v188, v126, v85
	v_lshrrev_b16 v80, 4, v80
	v_lshlrev_b32_sdwa v81, v84, v188 dst_sel:DWORD dst_unused:UNUSED_PAD src0_sel:DWORD src1_sel:WORD_0
	s_clause 0x3
	global_load_dwordx4 v[144:147], v81, s[8:9] offset:320
	global_load_dwordx4 v[148:151], v81, s[8:9] offset:336
	;; [unrolled: 1-line block ×4, first 2 shown]
	v_mul_lo_u16 v80, v80, 25
	v_sub_nc_u16 v80, v131, v80
	v_and_b32_e32 v189, 0xffff, v80
	v_lshlrev_b32_e32 v80, 6, v189
	s_clause 0x3
	global_load_dwordx4 v[160:163], v80, s[8:9] offset:320
	global_load_dwordx4 v[164:167], v80, s[8:9] offset:336
	;; [unrolled: 1-line block ×4, first 2 shown]
	s_waitcnt vmcnt(0) lgkmcnt(0)
	s_barrier
	buffer_gl0_inv
	v_mul_f64 v[82:83], v[30:31], v[100:101]
	v_mul_f64 v[80:81], v[32:33], v[107:108]
	;; [unrolled: 1-line block ×20, first 2 shown]
	v_fma_f64 v[88:89], v[6:7], v[98:99], v[82:83]
	v_fma_f64 v[86:87], v[0:1], v[105:106], v[80:81]
	;; [unrolled: 1-line block ×8, first 2 shown]
	v_mul_f64 v[10:11], v[4:5], v[146:147]
	v_mul_f64 v[121:122], v[18:19], v[150:151]
	;; [unrolled: 1-line block ×4, first 2 shown]
	v_fma_f64 v[96:97], v[32:33], v[105:106], -v[107:108]
	v_fma_f64 v[0:1], v[26:27], v[109:110], -v[111:112]
	;; [unrolled: 1-line block ×4, first 2 shown]
	v_fma_f64 v[82:83], v[4:5], v[144:145], v[178:179]
	v_fma_f64 v[18:19], v[18:19], v[148:149], v[180:181]
	;; [unrolled: 1-line block ×4, first 2 shown]
	v_fma_f64 v[14:15], v[36:37], v[117:118], -v[119:120]
	v_fma_f64 v[44:45], v[34:35], v[132:133], -v[134:135]
	;; [unrolled: 1-line block ×4, first 2 shown]
	v_add_f64 v[36:37], v[86:87], v[94:95]
	v_add_f64 v[32:33], v[88:89], v[90:91]
	;; [unrolled: 1-line block ×6, first 2 shown]
	v_fma_f64 v[46:47], v[28:29], v[144:145], -v[10:11]
	v_fma_f64 v[40:41], v[38:39], v[148:149], -v[121:122]
	;; [unrolled: 1-line block ×4, first 2 shown]
	v_add_f64 v[117:118], v[86:87], -v[88:89]
	v_add_f64 v[111:112], v[96:97], -v[0:1]
	v_add_f64 v[119:120], v[94:95], -v[90:91]
	v_add_f64 v[115:116], v[12:13], -v[6:7]
	v_add_f64 v[121:122], v[88:89], -v[86:87]
	v_add_f64 v[139:140], v[16:17], -v[20:21]
	v_add_f64 v[24:25], v[18:19], v[84:85]
	v_add_f64 v[28:29], v[82:83], v[92:93]
	v_add_f64 v[141:142], v[22:23], -v[80:81]
	v_add_f64 v[135:136], v[20:21], -v[16:17]
	;; [unrolled: 1-line block ×4, first 2 shown]
	v_fma_f64 v[36:37], v[36:37], -0.5, v[64:65]
	v_fma_f64 v[32:33], v[32:33], -0.5, v[64:65]
	v_add_f64 v[64:65], v[14:15], -v[8:9]
	v_fma_f64 v[98:99], v[98:99], -0.5, v[62:63]
	v_add_f64 v[109:110], v[109:110], v[88:89]
	v_fma_f64 v[62:63], v[100:101], -0.5, v[62:63]
	v_add_f64 v[100:101], v[60:61], v[82:83]
	v_add_f64 v[113:114], v[113:114], v[16:17]
	v_add_f64 v[133:134], v[40:41], -v[10:11]
	v_add_f64 v[131:132], v[46:47], -v[4:5]
	;; [unrolled: 1-line block ×4, first 2 shown]
	v_mul_f64 v[26:27], v[74:75], v[162:163]
	v_mul_f64 v[30:31], v[54:55], v[162:163]
	;; [unrolled: 1-line block ×4, first 2 shown]
	v_fma_f64 v[24:25], v[24:25], -0.5, v[60:61]
	v_fma_f64 v[28:29], v[28:29], -0.5, v[60:61]
	v_add_f64 v[60:61], v[90:91], -v[94:95]
	v_add_f64 v[147:148], v[18:19], -v[82:83]
	;; [unrolled: 1-line block ×3, first 2 shown]
	v_mul_f64 v[42:43], v[76:77], v[170:171]
	v_fma_f64 v[153:154], v[115:116], s[16:17], v[36:37]
	v_fma_f64 v[151:152], v[111:112], s[10:11], v[32:33]
	;; [unrolled: 1-line block ×8, first 2 shown]
	v_add_f64 v[100:101], v[100:101], v[18:19]
	v_mul_f64 v[105:106], v[56:57], v[170:171]
	v_mul_f64 v[107:108], v[72:73], v[174:175]
	;; [unrolled: 1-line block ×3, first 2 shown]
	v_add_f64 v[117:118], v[117:118], v[119:120]
	v_add_f64 v[109:110], v[109:110], v[90:91]
	;; [unrolled: 1-line block ×4, first 2 shown]
	v_fma_f64 v[162:163], v[131:132], s[10:11], v[24:25]
	v_fma_f64 v[166:167], v[133:134], s[16:17], v[28:29]
	;; [unrolled: 1-line block ×4, first 2 shown]
	v_add_f64 v[60:61], v[121:122], v[60:61]
	v_add_f64 v[121:122], v[139:140], v[141:142]
	v_fma_f64 v[141:142], v[111:112], s[6:7], v[153:154]
	v_fma_f64 v[139:140], v[115:116], s[6:7], v[151:152]
	v_fma_f64 v[111:112], v[111:112], s[14:15], v[36:37]
	v_fma_f64 v[115:116], v[115:116], s[14:15], v[32:33]
	v_add_f64 v[135:136], v[143:144], v[145:146]
	v_fma_f64 v[143:144], v[64:65], s[6:7], v[155:156]
	v_fma_f64 v[64:65], v[64:65], s[14:15], v[98:99]
	;; [unrolled: 1-line block ×4, first 2 shown]
	v_add_f64 v[100:101], v[100:101], v[84:85]
	v_add_f64 v[137:138], v[147:148], v[149:150]
	v_fma_f64 v[32:33], v[54:55], v[160:161], v[26:27]
	v_fma_f64 v[34:35], v[58:59], v[164:165], v[34:35]
	v_fma_f64 v[26:27], v[78:79], v[164:165], -v[38:39]
	v_fma_f64 v[36:37], v[56:57], v[168:169], v[42:43]
	v_fma_f64 v[38:39], v[52:53], v[172:173], v[107:108]
	;; [unrolled: 1-line block ×6, first 2 shown]
	v_fma_f64 v[28:29], v[74:75], v[160:161], -v[30:31]
	v_fma_f64 v[24:25], v[76:77], v[168:169], -v[105:106]
	v_add_f64 v[54:55], v[109:110], v[94:95]
	v_fma_f64 v[58:59], v[117:118], s[4:5], v[139:140]
	v_fma_f64 v[30:31], v[72:73], v[172:173], -v[170:171]
	v_fma_f64 v[76:77], v[60:61], s[4:5], v[141:142]
	v_fma_f64 v[60:61], v[60:61], s[4:5], v[111:112]
	;; [unrolled: 1-line block ×3, first 2 shown]
	v_add_f64 v[56:57], v[113:114], v[80:81]
	v_fma_f64 v[78:79], v[119:120], s[4:5], v[143:144]
	v_fma_f64 v[98:99], v[121:122], s[4:5], v[98:99]
	;; [unrolled: 1-line block ×4, first 2 shown]
	v_add_f64 v[100:101], v[100:101], v[92:93]
	v_lshlrev_b32_sdwa v42, v191, v186 dst_sel:DWORD dst_unused:UNUSED_PAD src0_sel:DWORD src1_sel:BYTE_0
	v_mul_u32_u24_sdwa v43, v187, v190 dst_sel:DWORD dst_unused:UNUSED_PAD src0_sel:WORD_0 src1_sel:DWORD
	v_lshlrev_b32_sdwa v72, v191, v188 dst_sel:DWORD dst_unused:UNUSED_PAD src0_sel:DWORD src1_sel:WORD_0
	v_add3_u32 v53, 0, v192, v123
	v_fma_f64 v[105:106], v[135:136], s[4:5], v[126:127]
	v_fma_f64 v[107:108], v[137:138], s[4:5], v[145:146]
	;; [unrolled: 1-line block ×4, first 2 shown]
	v_add3_u32 v52, 0, v193, v42
	v_add3_u32 v43, 0, v43, v72
	v_lshl_add_u32 v42, v189, 3, 0
	ds_write2_b64 v53, v[54:55], v[58:59] offset1:25
	ds_write2_b64 v53, v[76:77], v[60:61] offset0:50 offset1:75
	ds_write_b64 v53, v[74:75] offset:800
	ds_write2_b64 v52, v[56:57], v[78:79] offset1:25
	ds_write2_b64 v52, v[98:99], v[62:63] offset0:50 offset1:75
	ds_write_b64 v52, v[64:65] offset:800
	;; [unrolled: 3-line block ×3, first 2 shown]
	s_and_saveexec_b32 s1, s0
	s_cbranch_execz .LBB0_33
; %bb.32:
	v_add_f64 v[54:55], v[32:33], v[38:39]
	v_add_f64 v[56:57], v[34:35], v[36:37]
	v_add_f64 v[58:59], v[28:29], -v[30:31]
	v_add_f64 v[62:63], v[48:49], v[32:33]
	v_add_f64 v[60:61], v[26:27], -v[24:25]
	v_add_f64 v[64:65], v[36:37], -v[38:39]
	;; [unrolled: 1-line block ×4, first 2 shown]
	v_fma_f64 v[54:55], v[54:55], -0.5, v[48:49]
	v_fma_f64 v[48:49], v[56:57], -0.5, v[48:49]
	v_add_f64 v[56:57], v[34:35], -v[32:33]
	v_add_f64 v[62:63], v[62:63], v[34:35]
	v_fma_f64 v[76:77], v[60:61], s[10:11], v[54:55]
	v_fma_f64 v[78:79], v[58:59], s[10:11], v[48:49]
	;; [unrolled: 1-line block ×4, first 2 shown]
	v_add_f64 v[56:57], v[56:57], v[64:65]
	v_add_f64 v[64:65], v[72:73], v[74:75]
	;; [unrolled: 1-line block ×3, first 2 shown]
	v_fma_f64 v[72:73], v[58:59], s[14:15], v[76:77]
	v_fma_f64 v[74:75], v[60:61], s[6:7], v[78:79]
	;; [unrolled: 1-line block ×4, first 2 shown]
	v_add_f64 v[58:59], v[62:63], v[38:39]
	v_fma_f64 v[60:61], v[56:57], s[4:5], v[72:73]
	v_fma_f64 v[62:63], v[64:65], s[4:5], v[74:75]
	;; [unrolled: 1-line block ×4, first 2 shown]
	v_add_nc_u32_e32 v56, 0x3800, v42
	ds_write2_b64 v56, v[58:59], v[62:63] offset0:83 offset1:108
	ds_write2_b64 v56, v[54:55], v[60:61] offset0:133 offset1:158
	ds_write_b64 v42, v[48:49] offset:15800
.LBB0_33:
	s_or_b32 exec_lo, exec_lo, s1
	v_add_f64 v[48:49], v[12:13], v[6:7]
	v_add_f64 v[54:55], v[96:97], v[0:1]
	;; [unrolled: 1-line block ×7, first 2 shown]
	v_add_f64 v[74:75], v[88:89], -v[90:91]
	v_add_f64 v[90:91], v[66:67], v[46:47]
	v_add_f64 v[88:89], v[68:69], v[44:45]
	v_add_f64 v[72:73], v[86:87], -v[94:95]
	v_add_f64 v[20:21], v[20:21], -v[80:81]
	;; [unrolled: 1-line block ×11, first 2 shown]
	s_waitcnt lgkmcnt(0)
	v_fma_f64 v[48:49], v[48:49], -0.5, v[70:71]
	v_fma_f64 v[54:55], v[54:55], -0.5, v[70:71]
	;; [unrolled: 1-line block ×4, first 2 shown]
	v_add_f64 v[58:59], v[82:83], -v[92:93]
	v_fma_f64 v[60:61], v[60:61], -0.5, v[66:67]
	v_fma_f64 v[62:63], v[62:63], -0.5, v[66:67]
	v_add_f64 v[12:13], v[64:65], v[12:13]
	v_add_f64 v[40:41], v[90:91], v[40:41]
	v_add_f64 v[66:67], v[44:45], -v[14:15]
	v_add_f64 v[44:45], v[14:15], -v[44:45]
	v_add_f64 v[14:15], v[88:89], v[14:15]
	v_add_f64 v[68:69], v[2:3], -v[8:9]
	v_add_f64 v[70:71], v[8:9], -v[2:3]
	;; [unrolled: 1-line block ×3, first 2 shown]
	s_barrier
	buffer_gl0_inv
	v_add_f64 v[76:77], v[76:77], v[78:79]
	v_add_f64 v[78:79], v[86:87], v[94:95]
	;; [unrolled: 1-line block ×3, first 2 shown]
	v_fma_f64 v[64:65], v[72:73], s[16:17], v[48:49]
	v_fma_f64 v[48:49], v[72:73], s[10:11], v[48:49]
	;; [unrolled: 1-line block ×12, first 2 shown]
	v_add_f64 v[6:7], v[12:13], v[6:7]
	v_add_f64 v[10:11], v[40:41], v[10:11]
	v_add_f64 v[8:9], v[14:15], v[8:9]
	v_add_f64 v[66:67], v[66:67], v[68:69]
	v_add_f64 v[44:45], v[44:45], v[70:71]
	v_add_f64 v[68:69], v[80:81], v[82:83]
	v_add_nc_u32_e32 v80, 0xc00, v128
	v_fma_f64 v[12:13], v[74:75], s[14:15], v[64:65]
	v_fma_f64 v[14:15], v[74:75], s[6:7], v[48:49]
	;; [unrolled: 1-line block ×12, first 2 shown]
	v_add_f64 v[62:63], v[6:7], v[0:1]
	v_add_nc_u32_e32 v0, 0x1400, v128
	v_add_nc_u32_e32 v1, 0x1c00, v128
	v_add_f64 v[70:71], v[10:11], v[4:5]
	v_add_nc_u32_e32 v4, 0x2400, v128
	v_add_f64 v[64:65], v[8:9], v[2:3]
	v_add_nc_u32_e32 v8, 0x2c00, v128
	v_fma_f64 v[72:73], v[76:77], s[4:5], v[12:13]
	v_add_nc_u32_e32 v12, 0x3400, v128
	v_fma_f64 v[74:75], v[76:77], s[4:5], v[14:15]
	v_fma_f64 v[40:41], v[78:79], s[4:5], v[40:41]
	;; [unrolled: 1-line block ×8, first 2 shown]
	ds_read_b64 v[84:85], v128
	ds_read_b64 v[86:87], v129
	;; [unrolled: 1-line block ×3, first 2 shown]
	ds_read_b64 v[88:89], v104 offset:3000
	ds_read2_b64 v[16:19], v80 offset0:116 offset1:241
	ds_read2_b64 v[20:23], v0 offset0:110 offset1:235
	;; [unrolled: 1-line block ×6, first 2 shown]
	v_fma_f64 v[48:49], v[78:79], s[4:5], v[48:49]
	v_fma_f64 v[60:61], v[46:47], s[4:5], v[60:61]
	;; [unrolled: 1-line block ×3, first 2 shown]
	s_waitcnt lgkmcnt(0)
	s_barrier
	buffer_gl0_inv
	ds_write2_b64 v53, v[62:63], v[72:73] offset1:25
	ds_write2_b64 v53, v[40:41], v[48:49] offset0:50 offset1:75
	ds_write_b64 v53, v[74:75] offset:800
	ds_write2_b64 v52, v[64:65], v[54:55] offset1:25
	ds_write2_b64 v52, v[56:57], v[44:45] offset0:50 offset1:75
	ds_write_b64 v52, v[66:67] offset:800
	;; [unrolled: 3-line block ×3, first 2 shown]
	s_and_saveexec_b32 s1, s0
	s_cbranch_execz .LBB0_35
; %bb.34:
	v_add_f64 v[40:41], v[26:27], v[24:25]
	v_add_f64 v[43:44], v[28:29], v[30:31]
	;; [unrolled: 1-line block ×3, first 2 shown]
	v_add_f64 v[32:33], v[32:33], -v[38:39]
	v_add_f64 v[34:35], v[34:35], -v[36:37]
	s_mov_b32 s4, 0x134454ff
	s_mov_b32 s5, 0x3fee6f0e
	;; [unrolled: 1-line block ×4, first 2 shown]
	v_add_f64 v[47:48], v[24:25], -v[30:31]
	v_fma_f64 v[36:37], v[40:41], -0.5, v[50:51]
	v_fma_f64 v[38:39], v[43:44], -0.5, v[50:51]
	v_add_f64 v[40:41], v[28:29], -v[26:27]
	v_add_f64 v[43:44], v[30:31], -v[24:25]
	;; [unrolled: 1-line block ×3, first 2 shown]
	v_add_f64 v[26:27], v[45:46], v[26:27]
	v_fma_f64 v[45:46], v[32:33], s[4:5], v[36:37]
	v_fma_f64 v[49:50], v[34:35], s[6:7], v[38:39]
	;; [unrolled: 1-line block ×4, first 2 shown]
	s_mov_b32 s4, 0x4755a5e
	s_mov_b32 s5, 0x3fe2cf23
	;; [unrolled: 1-line block ×4, first 2 shown]
	v_add_f64 v[40:41], v[40:41], v[43:44]
	v_add_f64 v[24:25], v[26:27], v[24:25]
	;; [unrolled: 1-line block ×3, first 2 shown]
	v_fma_f64 v[26:27], v[34:35], s[4:5], v[45:46]
	v_fma_f64 v[43:44], v[32:33], s[4:5], v[49:50]
	;; [unrolled: 1-line block ×4, first 2 shown]
	s_mov_b32 s4, 0x372fe950
	s_mov_b32 s5, 0x3fd3c6ef
	v_add_f64 v[24:25], v[24:25], v[30:31]
	v_fma_f64 v[26:27], v[40:41], s[4:5], v[26:27]
	v_fma_f64 v[30:31], v[28:29], s[4:5], v[43:44]
	;; [unrolled: 1-line block ×4, first 2 shown]
	v_add_nc_u32_e32 v34, 0x3800, v42
	ds_write2_b64 v34, v[24:25], v[26:27] offset0:83 offset1:108
	ds_write2_b64 v34, v[30:31], v[28:29] offset0:133 offset1:158
	ds_write_b64 v42, v[32:33] offset:15800
.LBB0_35:
	s_or_b32 exec_lo, exec_lo, s1
	s_waitcnt lgkmcnt(0)
	s_barrier
	buffer_gl0_inv
	s_and_saveexec_b32 s0, vcc_lo
	s_cbranch_execz .LBB0_37
; %bb.36:
	v_mul_u32_u24_e32 v24, 15, v125
	v_add_nc_u32_e32 v107, 0x1c00, v128
	v_add_nc_u32_e32 v105, 0xc00, v128
	;; [unrolled: 1-line block ×4, first 2 shown]
	v_lshlrev_b32_e32 v44, 4, v24
	v_add_nc_u32_e32 v106, 0x1400, v128
	v_add_nc_u32_e32 v100, 0x3400, v128
	v_mad_u64_u32 v[122:123], null, s2, v124, 0
	global_load_dwordx4 v[52:55], v44, s[8:9] offset:1936
	v_add_co_u32 v56, s0, s8, v44
	s_clause 0x6
	global_load_dwordx4 v[24:27], v44, s[8:9] offset:2032
	global_load_dwordx4 v[28:31], v44, s[8:9] offset:2016
	;; [unrolled: 1-line block ×7, first 2 shown]
	v_add_co_ci_u32_e64 v57, null, s9, 0, s0
	v_add_co_u32 v72, vcc_lo, 0x800, v56
	v_add_nc_u32_e32 v163, 0xfa, v124
	v_add_co_ci_u32_e32 v73, vcc_lo, 0, v57, vcc_lo
	v_add_co_u32 v76, vcc_lo, 0x840, v56
	v_add_co_ci_u32_e32 v77, vcc_lo, 0, v57, vcc_lo
	s_clause 0x6
	global_load_dwordx4 v[56:59], v[72:73], off offset:48
	global_load_dwordx4 v[60:63], v[72:73], off offset:16
	;; [unrolled: 1-line block ×3, first 2 shown]
	global_load_dwordx4 v[64:67], v[72:73], off
	global_load_dwordx4 v[68:71], v[72:73], off offset:64
	global_load_dwordx4 v[72:75], v[72:73], off offset:32
	;; [unrolled: 1-line block ×3, first 2 shown]
	v_add_co_u32 v101, vcc_lo, s12, v102
	ds_read_b64 v[92:93], v128
	ds_read_b64 v[98:99], v130
	;; [unrolled: 1-line block ×3, first 2 shown]
	ds_read_b64 v[96:97], v104 offset:3000
	v_add_co_ci_u32_e32 v102, vcc_lo, s13, v103, vcc_lo
	ds_read2_b64 v[110:113], v107 offset0:104 offset1:229
	ds_read2_b64 v[114:117], v105 offset0:116 offset1:241
	;; [unrolled: 1-line block ×5, first 2 shown]
	v_add_nc_u32_e32 v164, 0x177, v124
	v_add_nc_u32_e32 v165, 0x1f4, v124
	;; [unrolled: 1-line block ×6, first 2 shown]
	v_mad_u64_u32 v[133:134], null, s2, v163, 0
	v_add_nc_u32_e32 v169, 0x3e8, v124
	v_mad_u64_u32 v[135:136], null, s2, v164, 0
	v_add_nc_u32_e32 v170, 0x465, v124
	v_add_nc_u32_e32 v171, 0x4e2, v124
	v_mad_u64_u32 v[137:138], null, s2, v165, 0
	v_mad_u64_u32 v[139:140], null, s2, v166, 0
	v_mov_b32_e32 v109, v123
	v_mad_u64_u32 v[141:142], null, s2, v167, 0
	v_mad_u64_u32 v[107:108], null, s2, v161, 0
	;; [unrolled: 1-line block ×3, first 2 shown]
	v_add_nc_u32_e32 v172, 0x55f, v124
	v_mad_u64_u32 v[145:146], null, s2, v169, 0
	v_add_nc_u32_e32 v173, 0x5dc, v124
	v_add_nc_u32_e32 v174, 0x659, v124
	;; [unrolled: 1-line block ×4, first 2 shown]
	v_mad_u64_u32 v[147:148], null, s2, v170, 0
	v_mad_u64_u32 v[149:150], null, s2, v171, 0
	s_waitcnt lgkmcnt(4)
	v_mad_u64_u32 v[123:124], null, s3, v124, v[109:110]
	v_mov_b32_e32 v109, v134
	v_mov_b32_e32 v124, v136
	;; [unrolled: 1-line block ×4, first 2 shown]
	v_mad_u64_u32 v[151:152], null, s2, v172, 0
	v_mov_b32_e32 v131, v142
	v_mad_u64_u32 v[153:154], null, s2, v173, 0
	v_mov_b32_e32 v132, v144
	v_mad_u64_u32 v[161:162], null, s3, v161, v[108:109]
	v_mad_u64_u32 v[155:156], null, s2, v174, 0
	;; [unrolled: 1-line block ×4, first 2 shown]
	v_mov_b32_e32 v134, v146
	s_waitcnt lgkmcnt(1)
	v_mad_u64_u32 v[163:164], null, s3, v164, v[124:125]
	v_mov_b32_e32 v108, v148
	v_mad_u64_u32 v[164:165], null, s3, v165, v[129:130]
	v_mov_b32_e32 v109, v150
	v_mad_u64_u32 v[165:166], null, s3, v166, v[130:131]
	v_mad_u64_u32 v[166:167], null, s3, v167, v[131:132]
	;; [unrolled: 1-line block ×3, first 2 shown]
	v_mov_b32_e32 v124, v152
	v_mad_u64_u32 v[168:169], null, s3, v169, v[134:135]
	v_mov_b32_e32 v129, v154
	v_mad_u64_u32 v[169:170], null, s3, v170, v[108:109]
	v_mad_u64_u32 v[170:171], null, s3, v171, v[109:110]
	v_mov_b32_e32 v108, v156
	v_mov_b32_e32 v109, v158
	v_mad_u64_u32 v[171:172], null, s3, v172, v[124:125]
	v_mad_u64_u32 v[172:173], null, s3, v173, v[129:130]
	;; [unrolled: 1-line block ×3, first 2 shown]
	v_mov_b32_e32 v108, v161
	v_mov_b32_e32 v134, v162
	;; [unrolled: 1-line block ×4, first 2 shown]
	v_mad_u64_u32 v[159:160], null, s2, v176, 0
	v_mad_u64_u32 v[174:175], null, s3, v175, v[109:110]
	v_mov_b32_e32 v136, v163
	v_mov_b32_e32 v138, v164
	;; [unrolled: 1-line block ×9, first 2 shown]
	v_mad_u64_u32 v[175:176], null, s3, v176, v[124:125]
	v_mov_b32_e32 v156, v173
	v_mov_b32_e32 v158, v174
	ds_read2_b64 v[129:132], v100 offset0:86 offset1:211
	v_lshlrev_b64 v[122:123], 4, v[122:123]
	v_lshlrev_b64 v[107:108], 4, v[107:108]
	s_mov_b32 s0, 0x667f3bcd
	v_mov_b32_e32 v160, v175
	s_mov_b32 s1, 0x3fe6a09e
	s_mov_b32 s5, 0xbfe6a09e
	s_mov_b32 s4, s0
	s_mov_b32 s6, 0xcf328d46
	s_mov_b32 s8, 0xa6aea964
	s_mov_b32 s7, 0x3fed906b
	s_mov_b32 s9, 0xbfd87de2
	s_mov_b32 s11, 0x3fd87de2
	s_mov_b32 s10, s8
	s_mov_b32 s15, 0xbfed906b
	s_mov_b32 s14, s6
	s_waitcnt vmcnt(13)
	v_mul_f64 v[163:164], v[0:1], v[26:27]
	s_waitcnt vmcnt(12)
	v_mul_f64 v[175:176], v[22:23], v[28:29]
	;; [unrolled: 2-line block ×3, first 2 shown]
	v_mul_f64 v[161:162], v[90:91], v[54:55]
	v_mul_f64 v[54:55], v[98:99], v[54:55]
	;; [unrolled: 1-line block ×3, first 2 shown]
	s_waitcnt vmcnt(9)
	v_mul_f64 v[167:168], v[16:17], v[36:37]
	s_waitcnt vmcnt(7)
	v_mul_f64 v[169:170], v[86:87], v[46:47]
	v_mul_f64 v[171:172], v[18:19], v[32:33]
	;; [unrolled: 1-line block ×9, first 2 shown]
	s_waitcnt vmcnt(6)
	v_mul_f64 v[177:178], v[8:9], v[56:57]
	s_waitcnt vmcnt(5)
	v_mul_f64 v[179:180], v[4:5], v[62:63]
	;; [unrolled: 2-line block ×3, first 2 shown]
	v_mul_f64 v[62:63], v[125:126], v[62:63]
	v_mul_f64 v[12:13], v[12:13], v[82:83]
	;; [unrolled: 1-line block ×3, first 2 shown]
	v_fma_f64 v[109:110], v[110:111], v[24:25], -v[163:164]
	s_waitcnt lgkmcnt(1)
	v_fma_f64 v[30:31], v[105:106], v[30:31], v[175:176]
	v_fma_f64 v[50:51], v[103:104], v[50:51], v[165:166]
	v_fma_f64 v[98:99], v[98:99], v[52:53], -v[161:162]
	v_fma_f64 v[52:53], v[90:91], v[52:53], v[54:55]
	s_waitcnt vmcnt(3)
	v_mul_f64 v[54:55], v[2:3], v[66:67]
	s_waitcnt vmcnt(2)
	v_mul_f64 v[90:91], v[10:11], v[68:69]
	v_fma_f64 v[20:21], v[103:104], v[48:49], -v[20:21]
	s_waitcnt vmcnt(1)
	v_mul_f64 v[48:49], v[6:7], v[74:75]
	s_waitcnt vmcnt(0)
	v_mul_f64 v[103:104], v[14:15], v[76:77]
	v_mul_f64 v[14:15], v[14:15], v[78:79]
	;; [unrolled: 1-line block ×5, first 2 shown]
	v_fma_f64 v[94:95], v[94:95], v[44:45], -v[169:170]
	v_fma_f64 v[38:39], v[114:115], v[38:39], v[167:168]
	v_fma_f64 v[34:35], v[116:117], v[34:35], v[171:172]
	v_fma_f64 v[96:97], v[96:97], v[40:41], -v[173:174]
	v_fma_f64 v[40:41], v[88:89], v[40:41], v[42:43]
	v_fma_f64 v[22:23], v[105:106], v[28:29], -v[22:23]
	;; [unrolled: 2-line block ×3, first 2 shown]
	v_fma_f64 v[16:17], v[114:115], v[36:37], -v[16:17]
	v_fma_f64 v[0:1], v[0:1], v[24:25], v[26:27]
	v_fma_f64 v[24:25], v[118:119], v[58:59], v[177:178]
	v_fma_f64 v[26:27], v[125:126], v[60:61], -v[179:180]
	s_waitcnt lgkmcnt(0)
	v_fma_f64 v[32:33], v[129:130], v[82:83], v[181:182]
	v_fma_f64 v[4:5], v[4:5], v[60:61], v[62:63]
	v_fma_f64 v[12:13], v[129:130], v[80:81], -v[12:13]
	v_fma_f64 v[36:37], v[112:113], v[64:65], -v[54:55]
	v_fma_f64 v[42:43], v[120:121], v[70:71], v[90:91]
	v_fma_f64 v[44:45], v[127:128], v[72:73], -v[48:49]
	v_fma_f64 v[46:47], v[131:132], v[78:79], v[103:104]
	;; [unrolled: 2-line block ×3, first 2 shown]
	v_fma_f64 v[2:3], v[2:3], v[64:65], v[66:67]
	v_fma_f64 v[10:11], v[120:121], v[68:69], -v[10:11]
	v_fma_f64 v[8:9], v[118:119], v[56:57], -v[8:9]
	v_add_f64 v[64:65], v[92:93], -v[109:110]
	v_lshlrev_b64 v[48:49], 4, v[133:134]
	v_add_co_u32 v82, vcc_lo, v101, v122
	v_add_co_ci_u32_e32 v83, vcc_lo, v102, v123, vcc_lo
	v_lshlrev_b64 v[54:55], 4, v[135:136]
	v_add_f64 v[0:1], v[84:85], -v[0:1]
	v_add_f64 v[24:25], v[38:39], -v[24:25]
	;; [unrolled: 1-line block ×15, first 2 shown]
	v_fma_f64 v[86:87], v[92:93], 2.0, -v[64:65]
	v_lshlrev_b64 v[56:57], 4, v[137:138]
	v_lshlrev_b64 v[58:59], 4, v[139:140]
	;; [unrolled: 1-line block ×6, first 2 shown]
	v_fma_f64 v[84:85], v[84:85], 2.0, -v[0:1]
	v_add_f64 v[88:89], v[64:65], -v[24:25]
	v_fma_f64 v[24:25], v[38:39], 2.0, -v[24:25]
	v_add_f64 v[90:91], v[26:27], -v[32:33]
	v_fma_f64 v[32:33], v[50:51], 2.0, -v[32:33]
	v_add_f64 v[92:93], v[4:5], v[12:13]
	v_fma_f64 v[50:51], v[94:95], 2.0, -v[36:37]
	v_add_f64 v[103:104], v[36:37], -v[42:43]
	v_fma_f64 v[12:13], v[20:21], 2.0, -v[12:13]
	v_add_f64 v[105:106], v[44:45], -v[46:47]
	v_fma_f64 v[30:31], v[30:31], 2.0, -v[46:47]
	v_add_f64 v[109:110], v[6:7], v[14:15]
	v_fma_f64 v[28:29], v[28:29], 2.0, -v[2:3]
	v_add_f64 v[111:112], v[2:3], v[10:11]
	v_add_f64 v[113:114], v[0:1], v[8:9]
	v_fma_f64 v[8:9], v[16:17], 2.0, -v[8:9]
	v_fma_f64 v[16:17], v[52:53], 2.0, -v[4:5]
	;; [unrolled: 1-line block ×9, first 2 shown]
	v_add_co_u32 v64, vcc_lo, v101, v107
	v_fma_f64 v[26:27], v[26:27], 2.0, -v[90:91]
	v_fma_f64 v[4:5], v[4:5], 2.0, -v[92:93]
	v_add_co_ci_u32_e32 v65, vcc_lo, v102, v108, vcc_lo
	v_fma_f64 v[36:37], v[36:37], 2.0, -v[103:104]
	v_fma_f64 v[38:39], v[44:45], 2.0, -v[105:106]
	v_add_co_u32 v94, vcc_lo, v101, v48
	v_fma_f64 v[6:7], v[6:7], 2.0, -v[109:110]
	v_fma_f64 v[2:3], v[2:3], 2.0, -v[111:112]
	;; [unrolled: 1-line block ×3, first 2 shown]
	v_fma_f64 v[42:43], v[90:91], s[0:1], v[88:89]
	v_fma_f64 v[44:45], v[105:106], s[0:1], v[103:104]
	v_add_f64 v[8:9], v[86:87], -v[8:9]
	v_add_f64 v[30:31], v[18:19], -v[30:31]
	;; [unrolled: 1-line block ×8, first 2 shown]
	v_fma_f64 v[46:47], v[109:110], s[0:1], v[111:112]
	v_fma_f64 v[52:53], v[92:93], s[0:1], v[113:114]
	v_add_co_ci_u32_e32 v95, vcc_lo, v102, v49, vcc_lo
	v_fma_f64 v[48:49], v[26:27], s[4:5], v[22:23]
	v_add_co_u32 v115, vcc_lo, v101, v54
	v_fma_f64 v[96:97], v[38:39], s[4:5], v[36:37]
	v_add_co_ci_u32_e32 v116, vcc_lo, v102, v55, vcc_lo
	v_fma_f64 v[98:99], v[6:7], s[4:5], v[2:3]
	v_fma_f64 v[107:108], v[4:5], s[4:5], v[0:1]
	;; [unrolled: 1-line block ×4, first 2 shown]
	v_fma_f64 v[54:55], v[86:87], 2.0, -v[8:9]
	v_fma_f64 v[18:19], v[18:19], 2.0, -v[30:31]
	;; [unrolled: 1-line block ×8, first 2 shown]
	v_fma_f64 v[46:47], v[105:106], s[0:1], v[46:47]
	v_fma_f64 v[52:53], v[90:91], s[0:1], v[52:53]
	v_add_f64 v[86:87], v[8:9], -v[32:33]
	v_add_f64 v[30:31], v[10:11], -v[30:31]
	v_add_f64 v[90:91], v[24:25], v[12:13]
	v_fma_f64 v[92:93], v[4:5], s[4:5], v[48:49]
	v_add_f64 v[14:15], v[20:21], v[14:15]
	v_fma_f64 v[12:13], v[6:7], s[4:5], v[96:97]
	v_lshlrev_b64 v[70:71], 4, v[149:150]
	v_lshlrev_b64 v[72:73], 4, v[151:152]
	v_fma_f64 v[32:33], v[38:39], s[0:1], v[98:99]
	v_fma_f64 v[96:97], v[26:27], s[0:1], v[107:108]
	v_add_co_u32 v98, vcc_lo, v101, v56
	v_add_co_ci_u32_e32 v99, vcc_lo, v102, v57, vcc_lo
	v_add_co_u32 v105, vcc_lo, v101, v58
	v_add_f64 v[40:41], v[54:55], -v[40:41]
	v_add_f64 v[18:19], v[28:29], -v[18:19]
	;; [unrolled: 1-line block ×4, first 2 shown]
	v_fma_f64 v[56:57], v[88:89], 2.0, -v[42:43]
	v_fma_f64 v[34:35], v[103:104], 2.0, -v[44:45]
	v_add_co_ci_u32_e32 v106, vcc_lo, v102, v59, vcc_lo
	v_fma_f64 v[26:27], v[111:112], 2.0, -v[46:47]
	v_fma_f64 v[58:59], v[8:9], 2.0, -v[86:87]
	;; [unrolled: 1-line block ×10, first 2 shown]
	v_add_co_u32 v113, vcc_lo, v101, v60
	v_add_co_ci_u32_e32 v114, vcc_lo, v102, v61, vcc_lo
	v_fma_f64 v[0:1], v[44:45], s[6:7], v[42:43]
	v_fma_f64 v[4:5], v[46:47], s[6:7], v[52:53]
	;; [unrolled: 1-line block ×3, first 2 shown]
	v_fma_f64 v[54:55], v[54:55], 2.0, -v[40:41]
	v_fma_f64 v[50:51], v[50:51], 2.0, -v[16:17]
	v_fma_f64 v[60:61], v[34:35], s[8:9], v[56:57]
	v_fma_f64 v[84:85], v[84:85], 2.0, -v[48:49]
	v_fma_f64 v[28:29], v[28:29], 2.0, -v[18:19]
	v_add_co_u32 v117, vcc_lo, v101, v62
	v_fma_f64 v[6:7], v[30:31], s[0:1], v[86:87]
	v_fma_f64 v[8:9], v[14:15], s[0:1], v[90:91]
	;; [unrolled: 1-line block ×7, first 2 shown]
	v_add_co_ci_u32_e32 v118, vcc_lo, v102, v63, vcc_lo
	v_fma_f64 v[62:63], v[26:27], s[8:9], v[88:89]
	v_add_f64 v[10:11], v[40:41], -v[18:19]
	v_add_co_u32 v66, vcc_lo, v101, v66
	v_fma_f64 v[2:3], v[46:47], s[8:9], v[0:1]
	v_fma_f64 v[0:1], v[44:45], s[10:11], v[4:5]
	;; [unrolled: 1-line block ×3, first 2 shown]
	v_add_co_ci_u32_e32 v67, vcc_lo, v102, v67, vcc_lo
	v_fma_f64 v[18:19], v[26:27], s[14:15], v[60:61]
	v_add_f64 v[26:27], v[54:55], -v[50:51]
	v_add_f64 v[24:25], v[84:85], -v[28:29]
	v_add_co_u32 v68, vcc_lo, v101, v68
	v_fma_f64 v[6:7], v[14:15], s[4:5], v[6:7]
	v_fma_f64 v[4:5], v[30:31], s[0:1], v[8:9]
	;; [unrolled: 1-line block ×6, first 2 shown]
	v_add_f64 v[8:9], v[48:49], v[16:17]
	v_fma_f64 v[20:21], v[38:39], s[0:1], v[121:122]
	v_fma_f64 v[16:17], v[34:35], s[6:7], v[62:63]
	v_add_co_ci_u32_e32 v69, vcc_lo, v102, v69, vcc_lo
	v_lshlrev_b64 v[74:75], 4, v[153:154]
	v_fma_f64 v[34:35], v[42:43], 2.0, -v[2:3]
	v_fma_f64 v[32:33], v[52:53], 2.0, -v[0:1]
	;; [unrolled: 1-line block ×3, first 2 shown]
	v_add_co_u32 v70, vcc_lo, v101, v70
	v_fma_f64 v[46:47], v[56:57], 2.0, -v[18:19]
	v_fma_f64 v[54:55], v[54:55], 2.0, -v[26:27]
	;; [unrolled: 1-line block ×4, first 2 shown]
	v_add_co_ci_u32_e32 v71, vcc_lo, v102, v71, vcc_lo
	v_fma_f64 v[38:39], v[86:87], 2.0, -v[6:7]
	v_fma_f64 v[62:63], v[92:93], 2.0, -v[14:15]
	;; [unrolled: 1-line block ×9, first 2 shown]
	v_lshlrev_b64 v[76:77], 4, v[155:156]
	v_add_co_u32 v72, vcc_lo, v101, v72
	v_add_co_ci_u32_e32 v73, vcc_lo, v102, v73, vcc_lo
	v_lshlrev_b64 v[78:79], 4, v[157:158]
	v_add_co_u32 v74, vcc_lo, v101, v74
	v_add_co_ci_u32_e32 v75, vcc_lo, v102, v75, vcc_lo
	;; [unrolled: 3-line block ×3, first 2 shown]
	v_add_co_u32 v78, vcc_lo, v101, v78
	v_add_co_ci_u32_e32 v79, vcc_lo, v102, v79, vcc_lo
	v_add_co_u32 v80, vcc_lo, v101, v80
	v_add_co_ci_u32_e32 v81, vcc_lo, v102, v81, vcc_lo
	global_store_dwordx4 v[82:83], v[52:55], off
	global_store_dwordx4 v[64:65], v[56:59], off
	;; [unrolled: 1-line block ×16, first 2 shown]
.LBB0_37:
	s_endpgm
	.section	.rodata,"a",@progbits
	.p2align	6, 0x0
	.amdhsa_kernel fft_rtc_back_len2000_factors_5_5_5_16_wgs_125_tpt_125_halfLds_dp_ip_CI_sbrr_dirReg
		.amdhsa_group_segment_fixed_size 0
		.amdhsa_private_segment_fixed_size 0
		.amdhsa_kernarg_size 88
		.amdhsa_user_sgpr_count 6
		.amdhsa_user_sgpr_private_segment_buffer 1
		.amdhsa_user_sgpr_dispatch_ptr 0
		.amdhsa_user_sgpr_queue_ptr 0
		.amdhsa_user_sgpr_kernarg_segment_ptr 1
		.amdhsa_user_sgpr_dispatch_id 0
		.amdhsa_user_sgpr_flat_scratch_init 0
		.amdhsa_user_sgpr_private_segment_size 0
		.amdhsa_wavefront_size32 1
		.amdhsa_uses_dynamic_stack 0
		.amdhsa_system_sgpr_private_segment_wavefront_offset 0
		.amdhsa_system_sgpr_workgroup_id_x 1
		.amdhsa_system_sgpr_workgroup_id_y 0
		.amdhsa_system_sgpr_workgroup_id_z 0
		.amdhsa_system_sgpr_workgroup_info 0
		.amdhsa_system_vgpr_workitem_id 0
		.amdhsa_next_free_vgpr 194
		.amdhsa_next_free_sgpr 23
		.amdhsa_reserve_vcc 1
		.amdhsa_reserve_flat_scratch 0
		.amdhsa_float_round_mode_32 0
		.amdhsa_float_round_mode_16_64 0
		.amdhsa_float_denorm_mode_32 3
		.amdhsa_float_denorm_mode_16_64 3
		.amdhsa_dx10_clamp 1
		.amdhsa_ieee_mode 1
		.amdhsa_fp16_overflow 0
		.amdhsa_workgroup_processor_mode 1
		.amdhsa_memory_ordered 1
		.amdhsa_forward_progress 0
		.amdhsa_shared_vgpr_count 0
		.amdhsa_exception_fp_ieee_invalid_op 0
		.amdhsa_exception_fp_denorm_src 0
		.amdhsa_exception_fp_ieee_div_zero 0
		.amdhsa_exception_fp_ieee_overflow 0
		.amdhsa_exception_fp_ieee_underflow 0
		.amdhsa_exception_fp_ieee_inexact 0
		.amdhsa_exception_int_div_zero 0
	.end_amdhsa_kernel
	.text
.Lfunc_end0:
	.size	fft_rtc_back_len2000_factors_5_5_5_16_wgs_125_tpt_125_halfLds_dp_ip_CI_sbrr_dirReg, .Lfunc_end0-fft_rtc_back_len2000_factors_5_5_5_16_wgs_125_tpt_125_halfLds_dp_ip_CI_sbrr_dirReg
                                        ; -- End function
	.section	.AMDGPU.csdata,"",@progbits
; Kernel info:
; codeLenInByte = 15128
; NumSgprs: 25
; NumVgprs: 194
; ScratchSize: 0
; MemoryBound: 1
; FloatMode: 240
; IeeeMode: 1
; LDSByteSize: 0 bytes/workgroup (compile time only)
; SGPRBlocks: 3
; VGPRBlocks: 24
; NumSGPRsForWavesPerEU: 25
; NumVGPRsForWavesPerEU: 194
; Occupancy: 4
; WaveLimiterHint : 1
; COMPUTE_PGM_RSRC2:SCRATCH_EN: 0
; COMPUTE_PGM_RSRC2:USER_SGPR: 6
; COMPUTE_PGM_RSRC2:TRAP_HANDLER: 0
; COMPUTE_PGM_RSRC2:TGID_X_EN: 1
; COMPUTE_PGM_RSRC2:TGID_Y_EN: 0
; COMPUTE_PGM_RSRC2:TGID_Z_EN: 0
; COMPUTE_PGM_RSRC2:TIDIG_COMP_CNT: 0
	.text
	.p2alignl 6, 3214868480
	.fill 48, 4, 3214868480
	.type	__hip_cuid_eb5a1cea9743926d,@object ; @__hip_cuid_eb5a1cea9743926d
	.section	.bss,"aw",@nobits
	.globl	__hip_cuid_eb5a1cea9743926d
__hip_cuid_eb5a1cea9743926d:
	.byte	0                               ; 0x0
	.size	__hip_cuid_eb5a1cea9743926d, 1

	.ident	"AMD clang version 19.0.0git (https://github.com/RadeonOpenCompute/llvm-project roc-6.4.0 25133 c7fe45cf4b819c5991fe208aaa96edf142730f1d)"
	.section	".note.GNU-stack","",@progbits
	.addrsig
	.addrsig_sym __hip_cuid_eb5a1cea9743926d
	.amdgpu_metadata
---
amdhsa.kernels:
  - .args:
      - .actual_access:  read_only
        .address_space:  global
        .offset:         0
        .size:           8
        .value_kind:     global_buffer
      - .offset:         8
        .size:           8
        .value_kind:     by_value
      - .actual_access:  read_only
        .address_space:  global
        .offset:         16
        .size:           8
        .value_kind:     global_buffer
      - .actual_access:  read_only
        .address_space:  global
        .offset:         24
        .size:           8
        .value_kind:     global_buffer
      - .offset:         32
        .size:           8
        .value_kind:     by_value
      - .actual_access:  read_only
        .address_space:  global
        .offset:         40
        .size:           8
        .value_kind:     global_buffer
      - .actual_access:  read_only
        .address_space:  global
        .offset:         48
        .size:           8
        .value_kind:     global_buffer
      - .offset:         56
        .size:           4
        .value_kind:     by_value
      - .actual_access:  read_only
        .address_space:  global
        .offset:         64
        .size:           8
        .value_kind:     global_buffer
      - .actual_access:  read_only
        .address_space:  global
        .offset:         72
        .size:           8
        .value_kind:     global_buffer
      - .address_space:  global
        .offset:         80
        .size:           8
        .value_kind:     global_buffer
    .group_segment_fixed_size: 0
    .kernarg_segment_align: 8
    .kernarg_segment_size: 88
    .language:       OpenCL C
    .language_version:
      - 2
      - 0
    .max_flat_workgroup_size: 125
    .name:           fft_rtc_back_len2000_factors_5_5_5_16_wgs_125_tpt_125_halfLds_dp_ip_CI_sbrr_dirReg
    .private_segment_fixed_size: 0
    .sgpr_count:     25
    .sgpr_spill_count: 0
    .symbol:         fft_rtc_back_len2000_factors_5_5_5_16_wgs_125_tpt_125_halfLds_dp_ip_CI_sbrr_dirReg.kd
    .uniform_work_group_size: 1
    .uses_dynamic_stack: false
    .vgpr_count:     194
    .vgpr_spill_count: 0
    .wavefront_size: 32
    .workgroup_processor_mode: 1
amdhsa.target:   amdgcn-amd-amdhsa--gfx1030
amdhsa.version:
  - 1
  - 2
...

	.end_amdgpu_metadata
